;; amdgpu-corpus repo=ROCm/rocFFT kind=compiled arch=gfx1030 opt=O3
	.text
	.amdgcn_target "amdgcn-amd-amdhsa--gfx1030"
	.amdhsa_code_object_version 6
	.protected	bluestein_single_back_len320_dim1_half_op_CI_CI ; -- Begin function bluestein_single_back_len320_dim1_half_op_CI_CI
	.globl	bluestein_single_back_len320_dim1_half_op_CI_CI
	.p2align	8
	.type	bluestein_single_back_len320_dim1_half_op_CI_CI,@function
bluestein_single_back_len320_dim1_half_op_CI_CI: ; @bluestein_single_back_len320_dim1_half_op_CI_CI
; %bb.0:
	s_load_dwordx4 s[16:19], s[4:5], 0x28
	v_lshrrev_b32_e32 v1, 4, v0
	v_mov_b32_e32 v33, 0
	s_mov_b32 s0, exec_lo
	v_lshl_or_b32 v32, s6, 2, v1
	s_waitcnt lgkmcnt(0)
	v_cmpx_gt_u64_e64 s[16:17], v[32:33]
	s_cbranch_execz .LBB0_2
; %bb.1:
	s_clause 0x1
	s_load_dwordx4 s[8:11], s[4:5], 0x18
	s_load_dwordx4 s[0:3], s[4:5], 0x0
	v_and_b32_e32 v71, 15, v0
	v_mul_u32_u24_e32 v35, 0x140, v1
	v_or_b32_e32 v0, 48, v0
	v_lshlrev_b32_e32 v34, 2, v71
	v_or_b32_e32 v1, v35, v71
	v_lshl_or_b32 v53, v35, 2, v34
	v_lshlrev_b32_e32 v54, 2, v1
	v_add_nc_u32_e32 v62, 0x400, v53
	s_waitcnt lgkmcnt(0)
	s_load_dwordx4 s[12:15], s[8:9], 0x0
	s_add_u32 s6, s0, 0x500
	s_addc_u32 s7, s1, 0
	s_clause 0x1
	global_load_dword v67, v34, s[0:1]
	global_load_dword v68, v34, s[0:1] offset:128
	s_waitcnt lgkmcnt(0)
	v_mad_u64_u32 v[2:3], null, s14, v32, 0
	v_mad_u64_u32 v[4:5], null, s12, v71, 0
	s_lshl_b64 s[8:9], s[12:13], 7
	v_mad_u64_u32 v[6:7], null, s15, v32, v[3:4]
	v_mad_u64_u32 v[7:8], null, s13, v71, v[5:6]
	v_mov_b32_e32 v3, v6
	s_mulk_i32 s13, 0xfbc0
	v_lshlrev_b64 v[2:3], 2, v[2:3]
	v_mov_b32_e32 v5, v7
	v_add_co_u32 v2, vcc_lo, s18, v2
	v_lshlrev_b64 v[4:5], 2, v[4:5]
	v_add_co_ci_u32_e32 v3, vcc_lo, s19, v3, vcc_lo
	v_add_co_u32 v2, vcc_lo, v2, v4
	v_add_co_ci_u32_e32 v3, vcc_lo, v3, v5, vcc_lo
	global_load_dword v6, v[2:3], off
	v_add_co_u32 v2, vcc_lo, v2, s8
	v_add_co_ci_u32_e32 v3, vcc_lo, s9, v3, vcc_lo
	v_add_co_u32 v4, vcc_lo, v2, s8
	v_add_co_ci_u32_e32 v5, vcc_lo, s9, v3, vcc_lo
	global_load_dword v7, v[2:3], off
	v_add_co_u32 v2, vcc_lo, v4, s8
	v_add_co_ci_u32_e32 v3, vcc_lo, s9, v5, vcc_lo
	global_load_dword v8, v[4:5], off
	global_load_dword v69, v34, s[0:1] offset:256
	global_load_dword v9, v[2:3], off
	v_add_co_u32 v2, vcc_lo, v2, s8
	v_add_co_ci_u32_e32 v3, vcc_lo, s9, v3, vcc_lo
	global_load_dword v70, v34, s[0:1] offset:384
	v_add_co_u32 v4, vcc_lo, v2, s8
	v_add_co_ci_u32_e32 v5, vcc_lo, s9, v3, vcc_lo
	global_load_dword v66, v34, s[0:1] offset:512
	global_load_dword v10, v[2:3], off
	s_clause 0x1
	global_load_dword v65, v34, s[0:1] offset:640
	global_load_dword v64, v34, s[0:1] offset:768
	global_load_dword v11, v[4:5], off
	v_add_co_u32 v2, vcc_lo, v4, s8
	v_add_co_ci_u32_e32 v3, vcc_lo, s9, v5, vcc_lo
	s_clause 0x1
	global_load_dword v63, v34, s[0:1] offset:896
	global_load_dword v61, v34, s[0:1] offset:1024
	v_add_co_u32 v4, vcc_lo, v2, s8
	v_add_co_ci_u32_e32 v5, vcc_lo, s9, v3, vcc_lo
	global_load_dword v12, v[2:3], off
	v_add_co_u32 v2, vcc_lo, v4, s8
	v_add_co_ci_u32_e32 v3, vcc_lo, s9, v5, vcc_lo
	global_load_dword v13, v[4:5], off
	;; [unrolled: 3-line block ×3, first 2 shown]
	v_mad_u64_u32 v[2:3], null, 0xfffffbc0, s12, v[4:5]
	global_load_dword v15, v[4:5], off
	s_sub_i32 s12, s13, s12
	v_add_nc_u32_e32 v3, s12, v3
	s_clause 0x3
	global_load_dword v60, v34, s[0:1] offset:1152
	global_load_dword v56, v34, s[0:1] offset:448
	;; [unrolled: 1-line block ×4, first 2 shown]
	global_load_dword v16, v[2:3], off
	v_add_co_u32 v2, vcc_lo, v2, s8
	global_load_dword v59, v34, s[0:1] offset:64
	v_add_co_ci_u32_e32 v3, vcc_lo, s9, v3, vcc_lo
	v_add_co_u32 v4, vcc_lo, v2, s8
	v_add_co_ci_u32_e32 v5, vcc_lo, s9, v3, vcc_lo
	global_load_dword v17, v[2:3], off
	v_add_co_u32 v2, vcc_lo, v4, s8
	v_add_co_ci_u32_e32 v3, vcc_lo, s9, v5, vcc_lo
	global_load_dword v18, v[4:5], off
	global_load_dword v50, v34, s[0:1] offset:960
	global_load_dword v19, v[2:3], off
	v_add_co_u32 v2, vcc_lo, v2, s8
	v_add_co_ci_u32_e32 v3, vcc_lo, s9, v3, vcc_lo
	global_load_dword v51, v34, s[0:1] offset:832
	v_add_co_u32 v4, vcc_lo, v2, s8
	v_add_co_ci_u32_e32 v5, vcc_lo, s9, v3, vcc_lo
	global_load_dword v52, v34, s[0:1] offset:704
	global_load_dword v20, v[2:3], off
	global_load_dword v55, v34, s[0:1] offset:576
	global_load_dword v21, v[4:5], off
	v_add_co_u32 v2, vcc_lo, v4, s8
	v_add_co_ci_u32_e32 v3, vcc_lo, s9, v5, vcc_lo
	v_add_co_u32 v4, vcc_lo, v2, s8
	v_add_co_ci_u32_e32 v5, vcc_lo, s9, v3, vcc_lo
	global_load_dword v22, v[2:3], off
	v_add_co_u32 v2, vcc_lo, v4, s8
	v_add_co_ci_u32_e32 v3, vcc_lo, s9, v5, vcc_lo
	global_load_dword v23, v[4:5], off
	;; [unrolled: 3-line block ×3, first 2 shown]
	global_load_dword v3, v[4:5], off
	s_clause 0x1
	global_load_dword v48, v34, s[0:1] offset:1216
	global_load_dword v49, v34, s[0:1] offset:1088
	s_load_dwordx4 s[12:15], s[10:11], 0x0
	v_cmp_gt_u32_e32 vcc_lo, 10, v71
	s_waitcnt lgkmcnt(0)
	s_lshl_b64 s[16:17], s[12:13], 7
	s_waitcnt vmcnt(37)
	v_lshrrev_b32_e32 v4, 16, v6
	v_mul_f16_sdwa v1, v67, v6 dst_sel:DWORD dst_unused:UNUSED_PAD src0_sel:WORD_1 src1_sel:DWORD
	v_mul_f16_sdwa v5, v67, v4 dst_sel:DWORD dst_unused:UNUSED_PAD src0_sel:WORD_1 src1_sel:DWORD
	v_fma_f16 v1, v67, v4, -v1
	s_waitcnt vmcnt(36)
	v_lshrrev_b32_e32 v24, 16, v7
	v_mul_f16_sdwa v4, v68, v7 dst_sel:DWORD dst_unused:UNUSED_PAD src0_sel:WORD_1 src1_sel:DWORD
	v_fmac_f16_e32 v5, v67, v6
	s_waitcnt vmcnt(35)
	v_lshrrev_b32_e32 v25, 16, v8
	v_mul_f16_sdwa v6, v68, v24 dst_sel:DWORD dst_unused:UNUSED_PAD src0_sel:WORD_1 src1_sel:DWORD
	s_waitcnt vmcnt(34)
	v_mul_f16_sdwa v26, v69, v8 dst_sel:DWORD dst_unused:UNUSED_PAD src0_sel:WORD_1 src1_sel:DWORD
	v_fma_f16 v4, v68, v24, -v4
	v_pack_b32_f16 v1, v5, v1
	v_mul_f16_sdwa v5, v69, v25 dst_sel:DWORD dst_unused:UNUSED_PAD src0_sel:WORD_1 src1_sel:DWORD
	v_fmac_f16_e32 v6, v68, v7
	v_fma_f16 v7, v69, v25, -v26
	s_waitcnt vmcnt(33)
	v_lshrrev_b32_e32 v24, 16, v9
	s_waitcnt vmcnt(32)
	v_mul_f16_sdwa v25, v70, v9 dst_sel:DWORD dst_unused:UNUSED_PAD src0_sel:WORD_1 src1_sel:DWORD
	ds_write_b32 v54, v1
	v_pack_b32_f16 v1, v6, v4
	v_fmac_f16_e32 v5, v69, v8
	v_mul_f16_sdwa v4, v70, v24 dst_sel:DWORD dst_unused:UNUSED_PAD src0_sel:WORD_1 src1_sel:DWORD
	v_fma_f16 v6, v70, v24, -v25
	s_waitcnt vmcnt(30)
	v_lshrrev_b32_e32 v8, 16, v10
	v_mul_f16_sdwa v24, v66, v10 dst_sel:DWORD dst_unused:UNUSED_PAD src0_sel:WORD_1 src1_sel:DWORD
	ds_write_b32 v54, v1 offset:128
	v_pack_b32_f16 v1, v5, v7
	v_fmac_f16_e32 v4, v70, v9
	v_mul_f16_sdwa v5, v66, v8 dst_sel:DWORD dst_unused:UNUSED_PAD src0_sel:WORD_1 src1_sel:DWORD
	v_fma_f16 v7, v66, v8, -v24
	s_waitcnt vmcnt(27)
	v_lshrrev_b32_e32 v8, 16, v11
	v_mul_f16_sdwa v9, v65, v11 dst_sel:DWORD dst_unused:UNUSED_PAD src0_sel:WORD_1 src1_sel:DWORD
	ds_write_b32 v53, v1 offset:256
	v_pack_b32_f16 v1, v4, v6
	v_fmac_f16_e32 v5, v66, v10
	v_mul_f16_sdwa v4, v65, v8 dst_sel:DWORD dst_unused:UNUSED_PAD src0_sel:WORD_1 src1_sel:DWORD
	v_fma_f16 v6, v65, v8, -v9
	s_waitcnt vmcnt(24)
	v_lshrrev_b32_e32 v8, 16, v12
	v_mul_f16_sdwa v9, v64, v12 dst_sel:DWORD dst_unused:UNUSED_PAD src0_sel:WORD_1 src1_sel:DWORD
	ds_write_b32 v53, v1 offset:384
	v_pack_b32_f16 v1, v5, v7
	v_fmac_f16_e32 v4, v65, v11
	v_mul_f16_sdwa v5, v64, v8 dst_sel:DWORD dst_unused:UNUSED_PAD src0_sel:WORD_1 src1_sel:DWORD
	v_fma_f16 v7, v64, v8, -v9
	s_waitcnt vmcnt(23)
	v_lshrrev_b32_e32 v8, 16, v13
	v_mul_f16_sdwa v9, v63, v13 dst_sel:DWORD dst_unused:UNUSED_PAD src0_sel:WORD_1 src1_sel:DWORD
	ds_write_b32 v53, v1 offset:512
	v_pack_b32_f16 v1, v4, v6
	v_fmac_f16_e32 v5, v64, v12
	s_waitcnt vmcnt(22)
	v_lshrrev_b32_e32 v6, 16, v14
	v_mul_f16_sdwa v4, v63, v8 dst_sel:DWORD dst_unused:UNUSED_PAD src0_sel:WORD_1 src1_sel:DWORD
	v_fma_f16 v8, v63, v8, -v9
	v_mul_f16_sdwa v9, v61, v14 dst_sel:DWORD dst_unused:UNUSED_PAD src0_sel:WORD_1 src1_sel:DWORD
	ds_write_b32 v53, v1 offset:640
	v_pack_b32_f16 v1, v5, v7
	v_mul_f16_sdwa v5, v61, v6 dst_sel:DWORD dst_unused:UNUSED_PAD src0_sel:WORD_1 src1_sel:DWORD
	s_waitcnt vmcnt(21)
	v_lshrrev_b32_e32 v7, 16, v15
	v_fmac_f16_e32 v4, v63, v13
	v_fma_f16 v6, v61, v6, -v9
	s_waitcnt vmcnt(20)
	v_mul_f16_sdwa v9, v60, v15 dst_sel:DWORD dst_unused:UNUSED_PAD src0_sel:WORD_1 src1_sel:DWORD
	v_fmac_f16_e32 v5, v61, v14
	v_mul_f16_sdwa v10, v60, v7 dst_sel:DWORD dst_unused:UNUSED_PAD src0_sel:WORD_1 src1_sel:DWORD
	ds_write_b32 v53, v1 offset:768
	v_pack_b32_f16 v1, v4, v8
	v_fma_f16 v4, v60, v7, -v9
	v_pack_b32_f16 v5, v5, v6
	v_fmac_f16_e32 v10, v60, v15
	s_waitcnt vmcnt(16)
	v_lshrrev_b32_e32 v6, 16, v16
	ds_write_b32 v53, v1 offset:896
	s_waitcnt vmcnt(15)
	v_mul_f16_sdwa v1, v59, v16 dst_sel:DWORD dst_unused:UNUSED_PAD src0_sel:WORD_1 src1_sel:DWORD
	ds_write_b32 v53, v5 offset:1024
	v_pack_b32_f16 v4, v10, v4
	v_mul_f16_sdwa v5, v59, v6 dst_sel:DWORD dst_unused:UNUSED_PAD src0_sel:WORD_1 src1_sel:DWORD
	s_waitcnt vmcnt(14)
	v_lshrrev_b32_e32 v7, 16, v17
	v_fma_f16 v1, v59, v6, -v1
	v_mul_f16_sdwa v6, v58, v17 dst_sel:DWORD dst_unused:UNUSED_PAD src0_sel:WORD_1 src1_sel:DWORD
	ds_write_b32 v53, v4 offset:1152
	v_fmac_f16_e32 v5, v59, v16
	v_mul_f16_sdwa v4, v58, v7 dst_sel:DWORD dst_unused:UNUSED_PAD src0_sel:WORD_1 src1_sel:DWORD
	s_waitcnt vmcnt(13)
	v_lshrrev_b32_e32 v8, 16, v18
	v_mul_f16_sdwa v9, v57, v18 dst_sel:DWORD dst_unused:UNUSED_PAD src0_sel:WORD_1 src1_sel:DWORD
	v_fma_f16 v6, v58, v7, -v6
	v_pack_b32_f16 v1, v5, v1
	v_fmac_f16_e32 v4, v58, v17
	v_mul_f16_sdwa v5, v57, v8 dst_sel:DWORD dst_unused:UNUSED_PAD src0_sel:WORD_1 src1_sel:DWORD
	v_fma_f16 v7, v57, v8, -v9
	s_waitcnt vmcnt(11)
	v_lshrrev_b32_e32 v8, 16, v19
	v_mul_f16_sdwa v9, v56, v19 dst_sel:DWORD dst_unused:UNUSED_PAD src0_sel:WORD_1 src1_sel:DWORD
	ds_write_b32 v54, v1 offset:64
	v_pack_b32_f16 v1, v4, v6
	v_fmac_f16_e32 v5, v57, v18
	v_mul_f16_sdwa v4, v56, v8 dst_sel:DWORD dst_unused:UNUSED_PAD src0_sel:WORD_1 src1_sel:DWORD
	v_fma_f16 v6, v56, v8, -v9
	s_waitcnt vmcnt(8)
	v_lshrrev_b32_e32 v8, 16, v20
	s_waitcnt vmcnt(7)
	v_mul_f16_sdwa v9, v55, v20 dst_sel:DWORD dst_unused:UNUSED_PAD src0_sel:WORD_1 src1_sel:DWORD
	ds_write_b32 v54, v1 offset:192
	v_pack_b32_f16 v1, v5, v7
	v_fmac_f16_e32 v4, v56, v19
	v_mul_f16_sdwa v5, v55, v8 dst_sel:DWORD dst_unused:UNUSED_PAD src0_sel:WORD_1 src1_sel:DWORD
	v_fma_f16 v7, v55, v8, -v9
	s_waitcnt vmcnt(6)
	v_lshrrev_b32_e32 v8, 16, v21
	v_mul_f16_sdwa v9, v52, v21 dst_sel:DWORD dst_unused:UNUSED_PAD src0_sel:WORD_1 src1_sel:DWORD
	ds_write_b32 v53, v1 offset:320
	v_pack_b32_f16 v1, v4, v6
	v_fmac_f16_e32 v5, v55, v20
	v_mul_f16_sdwa v4, v52, v8 dst_sel:DWORD dst_unused:UNUSED_PAD src0_sel:WORD_1 src1_sel:DWORD
	v_fma_f16 v6, v52, v8, -v9
	s_waitcnt vmcnt(5)
	v_lshrrev_b32_e32 v8, 16, v22
	v_mul_f16_sdwa v9, v51, v22 dst_sel:DWORD dst_unused:UNUSED_PAD src0_sel:WORD_1 src1_sel:DWORD
	ds_write_b32 v53, v1 offset:448
	v_pack_b32_f16 v1, v5, v7
	s_waitcnt vmcnt(2)
	v_lshrrev_b32_e32 v11, 16, v3
	v_mul_f16_sdwa v5, v51, v8 dst_sel:DWORD dst_unused:UNUSED_PAD src0_sel:WORD_1 src1_sel:DWORD
	v_fma_f16 v7, v51, v8, -v9
	v_lshrrev_b32_e32 v8, 16, v23
	v_mul_f16_sdwa v9, v50, v23 dst_sel:DWORD dst_unused:UNUSED_PAD src0_sel:WORD_1 src1_sel:DWORD
	ds_write_b32 v53, v1 offset:576
	v_lshrrev_b32_e32 v1, 16, v2
	s_waitcnt vmcnt(1)
	v_mul_f16_sdwa v13, v48, v3 dst_sel:DWORD dst_unused:UNUSED_PAD src0_sel:WORD_1 src1_sel:DWORD
	v_mul_f16_sdwa v10, v50, v8 dst_sel:DWORD dst_unused:UNUSED_PAD src0_sel:WORD_1 src1_sel:DWORD
	v_fma_f16 v8, v50, v8, -v9
	s_waitcnt vmcnt(0)
	v_mul_f16_sdwa v9, v49, v2 dst_sel:DWORD dst_unused:UNUSED_PAD src0_sel:WORD_1 src1_sel:DWORD
	v_mul_f16_sdwa v12, v49, v1 dst_sel:DWORD dst_unused:UNUSED_PAD src0_sel:WORD_1 src1_sel:DWORD
	;; [unrolled: 1-line block ×3, first 2 shown]
	v_fmac_f16_e32 v4, v52, v21
	v_fmac_f16_e32 v5, v51, v22
	;; [unrolled: 1-line block ×3, first 2 shown]
	v_fma_f16 v1, v49, v1, -v9
	v_fmac_f16_e32 v12, v49, v2
	v_fma_f16 v2, v48, v11, -v13
	v_fmac_f16_e32 v14, v48, v3
	v_pack_b32_f16 v3, v4, v6
	v_mul_u32_u24_e32 v20, 10, v71
	v_pack_b32_f16 v4, v5, v7
	v_pack_b32_f16 v5, v10, v8
	v_pack_b32_f16 v1, v12, v1
	v_pack_b32_f16 v2, v14, v2
	ds_write_b32 v53, v3 offset:704
	ds_write_b32 v53, v4 offset:832
	;; [unrolled: 1-line block ×5, first 2 shown]
	s_waitcnt lgkmcnt(0)
	s_barrier
	buffer_gl0_inv
	ds_read2_b32 v[7:8], v53 offset0:128 offset1:144
	ds_read2_b32 v[3:4], v53 offset0:192 offset1:208
	ds_read2_b32 v[1:2], v62 offset1:16
	ds_read2_b32 v[9:10], v53 offset0:64 offset1:80
	ds_read2_b32 v[5:6], v54 offset1:16
	ds_read2_b32 v[12:13], v53 offset0:96 offset1:112
	ds_read2_b32 v[14:15], v53 offset0:224 offset1:240
	;; [unrolled: 1-line block ×4, first 2 shown]
	v_add_lshl_u32 v74, v35, v20, 2
	ds_read2_b32 v[20:21], v54 offset0:32 offset1:48
	v_or_b32_e32 v11, 16, v71
	s_waitcnt lgkmcnt(0)
	s_barrier
	buffer_gl0_inv
	v_mul_u32_u24_e32 v22, 10, v11
	v_add_f16_sdwa v26, v7, v3 dst_sel:DWORD dst_unused:UNUSED_PAD src0_sel:WORD_1 src1_sel:WORD_1
	v_sub_f16_e32 v24, v3, v1
	v_sub_f16_e32 v25, v7, v9
	v_lshrrev_b32_e32 v27, 16, v5
	v_add_f16_sdwa v28, v9, v1 dst_sel:DWORD dst_unused:UNUSED_PAD src0_sel:WORD_1 src1_sel:WORD_1
	v_sub_f16_sdwa v29, v7, v9 dst_sel:DWORD dst_unused:UNUSED_PAD src0_sel:WORD_1 src1_sel:WORD_1
	v_sub_f16_sdwa v30, v3, v1 dst_sel:DWORD dst_unused:UNUSED_PAD src0_sel:WORD_1 src1_sel:WORD_1
	v_sub_f16_e32 v36, v18, v12
	v_add_f16_sdwa v37, v18, v14 dst_sel:DWORD dst_unused:UNUSED_PAD src0_sel:WORD_1 src1_sel:WORD_1
	v_add_f16_sdwa v38, v12, v16 dst_sel:DWORD dst_unused:UNUSED_PAD src0_sel:WORD_1 src1_sel:WORD_1
	v_add_f16_e32 v39, v9, v1
	v_sub_f16_sdwa v40, v18, v12 dst_sel:DWORD dst_unused:UNUSED_PAD src0_sel:WORD_1 src1_sel:WORD_1
	v_sub_f16_sdwa v41, v9, v1 dst_sel:DWORD dst_unused:UNUSED_PAD src0_sel:WORD_1 src1_sel:WORD_1
	v_sub_f16_e32 v43, v9, v1
	v_add_f16_e32 v44, v12, v16
	v_sub_f16_sdwa v46, v12, v16 dst_sel:DWORD dst_unused:UNUSED_PAD src0_sel:WORD_1 src1_sel:WORD_1
	v_sub_f16_e32 v72, v12, v16
	v_sub_f16_e32 v73, v9, v7
	v_sub_f16_sdwa v75, v9, v7 dst_sel:DWORD dst_unused:UNUSED_PAD src0_sel:WORD_1 src1_sel:WORD_1
	v_sub_f16_e32 v76, v12, v18
	v_sub_f16_sdwa v77, v12, v18 dst_sel:DWORD dst_unused:UNUSED_PAD src0_sel:WORD_1 src1_sel:WORD_1
	v_pk_add_f16 v9, v5, v9
	v_pk_add_f16 v12, v20, v12
	v_lshrrev_b32_e32 v104, 16, v20
	v_add_f16_e32 v78, v18, v14
	v_sub_f16_sdwa v23, v7, v3 dst_sel:DWORD dst_unused:UNUSED_PAD src0_sel:WORD_1 src1_sel:WORD_1
	v_sub_f16_e32 v31, v14, v16
	v_sub_f16_e32 v42, v7, v3
	v_sub_f16_sdwa v45, v18, v14 dst_sel:DWORD dst_unused:UNUSED_PAD src0_sel:WORD_1 src1_sel:WORD_1
	v_sub_f16_e32 v47, v18, v14
	v_add_f16_e32 v79, v7, v3
	v_pk_add_f16 v80, v6, v10
	v_sub_f16_e32 v84, v8, v10
	v_add_f16_sdwa v85, v8, v4 dst_sel:DWORD dst_unused:UNUSED_PAD src0_sel:WORD_1 src1_sel:WORD_1
	v_pk_add_f16 v92, v21, v13
	v_add_f16_e32 v93, v19, v15
	v_sub_f16_e32 v95, v13, v19
	v_sub_f16_e32 v96, v19, v13
	v_add_f16_sdwa v97, v19, v15 dst_sel:DWORD dst_unused:UNUSED_PAD src0_sel:WORD_1 src1_sel:WORD_1
	v_sub_f16_sdwa v99, v13, v19 dst_sel:DWORD dst_unused:UNUSED_PAD src0_sel:WORD_1 src1_sel:WORD_1
	v_sub_f16_sdwa v100, v19, v13 dst_sel:DWORD dst_unused:UNUSED_PAD src0_sel:WORD_1 src1_sel:WORD_1
	;; [unrolled: 1-line block ×3, first 2 shown]
	v_add_f16_e32 v102, v13, v17
	v_sub_f16_e32 v103, v13, v17
	v_add_f16_sdwa v13, v13, v17 dst_sel:DWORD dst_unused:UNUSED_PAD src0_sel:WORD_1 src1_sel:WORD_1
	v_lshrrev_b32_e32 v105, 16, v6
	v_lshrrev_b32_e32 v107, 16, v21
	v_sub_f16_e32 v108, v1, v3
	v_sub_f16_e32 v110, v16, v14
	;; [unrolled: 1-line block ×3, first 2 shown]
	v_pk_add_f16 v7, v9, v7
	v_pk_add_f16 v9, v12, v18
	v_fma_f16 v18, -0.5, v39, v5
	v_fma_f16 v39, -0.5, v44, v20
	v_add_f16_e32 v24, v25, v24
	v_fma_f16 v25, -0.5, v26, v27
	v_add_f16_e32 v26, v29, v30
	v_fma_f16 v29, -0.5, v37, v104
	v_fmac_f16_e32 v104, -0.5, v38
	v_sub_f16_e32 v83, v10, v8
	v_sub_f16_sdwa v87, v10, v8 dst_sel:DWORD dst_unused:UNUSED_PAD src0_sel:WORD_1 src1_sel:WORD_1
	v_sub_f16_sdwa v88, v8, v10 dst_sel:DWORD dst_unused:UNUSED_PAD src0_sel:WORD_1 src1_sel:WORD_1
	;; [unrolled: 1-line block ×3, first 2 shown]
	v_add_f16_e32 v90, v10, v2
	v_sub_f16_e32 v91, v10, v2
	v_add_f16_sdwa v10, v10, v2 dst_sel:DWORD dst_unused:UNUSED_PAD src0_sel:WORD_1 src1_sel:WORD_1
	v_sub_f16_sdwa v109, v1, v3 dst_sel:DWORD dst_unused:UNUSED_PAD src0_sel:WORD_1 src1_sel:WORD_1
	v_sub_f16_sdwa v114, v2, v4 dst_sel:DWORD dst_unused:UNUSED_PAD src0_sel:WORD_1 src1_sel:WORD_1
	v_fma_f16 v20, -0.5, v78, v20
	v_add_f16_e32 v81, v8, v4
	v_sub_f16_sdwa v82, v8, v4 dst_sel:DWORD dst_unused:UNUSED_PAD src0_sel:WORD_1 src1_sel:WORD_1
	v_sub_f16_e32 v86, v8, v4
	v_sub_f16_sdwa v94, v19, v15 dst_sel:DWORD dst_unused:UNUSED_PAD src0_sel:WORD_1 src1_sel:WORD_1
	v_sub_f16_e32 v98, v19, v15
	v_sub_f16_sdwa v106, v14, v16 dst_sel:DWORD dst_unused:UNUSED_PAD src0_sel:WORD_1 src1_sel:WORD_1
	v_sub_f16_sdwa v111, v16, v14 dst_sel:DWORD dst_unused:UNUSED_PAD src0_sel:WORD_1 src1_sel:WORD_1
	;; [unrolled: 1-line block ×3, first 2 shown]
	v_sub_f16_e32 v116, v17, v15
	v_pk_add_f16 v8, v80, v8
	v_fma_f16 v44, -0.5, v93, v21
	v_fma_f16 v21, -0.5, v102, v21
	v_fmac_f16_e32 v27, -0.5, v28
	v_add_f16_e32 v28, v36, v31
	v_add_f16_e32 v31, v73, v108
	;; [unrolled: 1-line block ×4, first 2 shown]
	v_fma_f16 v76, -0.5, v85, v105
	v_fma_f16 v80, -0.5, v97, v107
	v_fmac_f16_e32 v107, -0.5, v13
	v_fmamk_f16 v84, v45, 0xbb9c, v39
	v_fmac_f16_e32 v39, 0x3b9c, v45
	v_fmamk_f16 v85, v47, 0x3b9c, v104
	v_fmac_f16_e32 v104, 0xbb9c, v47
	v_pk_add_f16 v12, v92, v19
	v_add_f16_e32 v36, v75, v109
	v_add_f16_e32 v75, v87, v114
	v_fmac_f16_e32 v105, -0.5, v10
	v_fmamk_f16 v87, v46, 0x3b9c, v20
	v_sub_f16_e32 v112, v2, v4
	v_sub_f16_e32 v117, v15, v17
	v_sub_f16_sdwa v119, v15, v17 dst_sel:DWORD dst_unused:UNUSED_PAD src0_sel:WORD_1 src1_sel:WORD_1
	v_add_f16_e32 v30, v40, v106
	v_add_f16_e32 v38, v77, v111
	;; [unrolled: 1-line block ×4, first 2 shown]
	v_fmamk_f16 v88, v72, 0xbb9c, v29
	v_fmac_f16_e32 v29, 0x3b9c, v72
	v_fmamk_f16 v93, v101, 0x3b9c, v44
	v_fmamk_f16 v95, v94, 0xbb9c, v21
	v_fmac_f16_e32 v21, 0x3b9c, v94
	v_fmamk_f16 v97, v98, 0x3b9c, v107
	v_fmac_f16_e32 v107, 0xbb9c, v98
	v_fmac_f16_e32 v39, 0xb8b4, v46
	;; [unrolled: 1-line block ×3, first 2 shown]
	v_sub_f16_sdwa v118, v17, v15 dst_sel:DWORD dst_unused:UNUSED_PAD src0_sel:WORD_1 src1_sel:WORD_1
	v_fma_f16 v5, -0.5, v79, v5
	v_pk_add_f16 v4, v8, v4
	v_pk_add_f16 v8, v12, v15
	v_fmac_f16_e32 v20, 0xbb9c, v46
	v_fmamk_f16 v15, v86, 0x3b9c, v105
	v_fmac_f16_e32 v105, 0xbb9c, v86
	v_fmac_f16_e32 v84, 0x38b4, v46
	;; [unrolled: 1-line block ×4, first 2 shown]
	v_fma_f16 v19, -0.5, v81, v6
	v_fma_f16 v6, -0.5, v90, v6
	v_add_f16_e32 v40, v83, v112
	v_add_f16_e32 v78, v96, v117
	;; [unrolled: 1-line block ×3, first 2 shown]
	v_fmamk_f16 v81, v23, 0xbb9c, v18
	v_fmac_f16_e32 v18, 0x3b9c, v23
	v_fmamk_f16 v83, v42, 0x3b9c, v27
	v_fmac_f16_e32 v27, 0xbb9c, v42
	v_fmamk_f16 v92, v43, 0xbb9c, v25
	v_pk_add_f16 v3, v7, v3
	v_pk_add_f16 v7, v9, v14
	v_fmac_f16_e32 v25, 0x3b9c, v43
	v_fmac_f16_e32 v44, 0xbb9c, v101
	v_fmamk_f16 v96, v103, 0xbb9c, v80
	v_fmac_f16_e32 v80, 0x3b9c, v103
	v_fmac_f16_e32 v29, 0x38b4, v47
	;; [unrolled: 1-line block ×8, first 2 shown]
	v_fmamk_f16 v90, v41, 0x3b9c, v5
	v_fmac_f16_e32 v88, 0xb8b4, v47
	v_fmac_f16_e32 v20, 0xb8b4, v45
	v_fmac_f16_e32 v15, 0xb8b4, v91
	v_fmac_f16_e32 v105, 0x38b4, v91
	v_fmac_f16_e32 v84, 0x34f2, v28
	v_fmac_f16_e32 v85, 0x34f2, v30
	v_fmac_f16_e32 v87, 0x34f2, v37
	v_add_f16_e32 v79, v99, v118
	v_fmac_f16_e32 v5, 0xbb9c, v41
	v_fmamk_f16 v9, v89, 0x3b9c, v19
	v_fmac_f16_e32 v19, 0xbb9c, v89
	v_fmamk_f16 v12, v82, 0xbb9c, v6
	v_fmac_f16_e32 v6, 0x3b9c, v82
	v_fmac_f16_e32 v81, 0x38b4, v41
	;; [unrolled: 1-line block ×6, first 2 shown]
	v_pk_add_f16 v41, v3, v1
	v_pk_add_f16 v7, v7, v16
	;; [unrolled: 1-line block ×3, first 2 shown]
	v_fmac_f16_e32 v25, 0x38b4, v42
	v_fmac_f16_e32 v44, 0xb8b4, v94
	;; [unrolled: 1-line block ×10, first 2 shown]
	v_mul_f16_e32 v2, 0xb4f2, v39
	v_mul_f16_e32 v3, 0xb4f2, v104
	v_fmac_f16_e32 v90, 0x38b4, v23
	v_pk_add_f16 v17, v8, v17
	v_fmac_f16_e32 v88, 0x34f2, v38
	v_fmac_f16_e32 v20, 0x34f2, v37
	v_fmac_f16_e32 v15, 0x34f2, v10
	v_fmac_f16_e32 v105, 0x34f2, v10
	v_mul_f16_e32 v4, 0x3b9c, v85
	v_mul_f16_e32 v8, 0xbb9c, v84
	v_mul_f16_e32 v10, 0x3a79, v87
	v_mul_f16_e32 v13, 0xb8b4, v87
	v_fmamk_f16 v14, v91, 0xbb9c, v76
	v_fmac_f16_e32 v5, 0xb8b4, v23
	v_fmac_f16_e32 v9, 0x38b4, v82
	;; [unrolled: 1-line block ×15, first 2 shown]
	v_mul_f16_e32 v24, 0xba79, v29
	v_mul_f16_e32 v26, 0x3a79, v93
	;; [unrolled: 1-line block ×5, first 2 shown]
	v_fmac_f16_e32 v2, 0x3b9c, v104
	v_fmac_f16_e32 v3, 0xbb9c, v39
	;; [unrolled: 1-line block ×3, first 2 shown]
	v_mul_f16_e32 v23, 0xba79, v20
	v_fmac_f16_e32 v4, 0x34f2, v84
	v_fmac_f16_e32 v8, 0x34f2, v85
	;; [unrolled: 1-line block ×10, first 2 shown]
	v_mul_f16_e32 v28, 0xb8b4, v93
	v_mul_f16_e32 v31, 0xbb9c, v95
	;; [unrolled: 1-line block ×4, first 2 shown]
	v_fmac_f16_e32 v24, 0xb8b4, v20
	v_fmac_f16_e32 v26, 0x38b4, v96
	;; [unrolled: 1-line block ×5, first 2 shown]
	v_add_f16_e32 v20, v18, v2
	v_add_f16_e32 v21, v27, v3
	v_fmac_f16_e32 v23, 0x38b4, v29
	v_add_f16_e32 v29, v81, v4
	v_add_f16_e32 v39, v83, v8
	;; [unrolled: 1-line block ×4, first 2 shown]
	v_fmac_f16_e32 v14, 0x34f2, v75
	v_fmac_f16_e32 v28, 0x3a79, v96
	;; [unrolled: 1-line block ×5, first 2 shown]
	v_sub_f16_e32 v10, v90, v10
	v_sub_f16_e32 v44, v81, v4
	;; [unrolled: 1-line block ×3, first 2 shown]
	v_add_f16_e32 v46, v25, v24
	v_sub_f16_e32 v24, v25, v24
	v_add_f16_e32 v25, v9, v26
	v_sub_f16_e32 v26, v9, v26
	;; [unrolled: 2-line block ×3, first 2 shown]
	v_add_f16_e32 v30, v6, v36
	v_pack_b32_f16 v4, v20, v21
	v_add_f16_e32 v20, v105, v37
	v_pk_add_f16 v1, v41, v7
	v_sub_f16_e32 v8, v83, v8
	v_sub_f16_e32 v18, v18, v2
	v_add_f16_e32 v45, v5, v23
	v_sub_f16_e32 v27, v27, v3
	v_pack_b32_f16 v3, v29, v39
	v_pack_b32_f16 v2, v42, v43
	v_fmac_f16_e32 v76, 0x3b9c, v91
	v_sub_f16_e32 v23, v5, v23
	v_add_f16_e32 v47, v19, v38
	v_sub_f16_e32 v19, v19, v38
	v_add_f16_e32 v38, v14, v28
	;; [unrolled: 2-line block ×3, first 2 shown]
	v_sub_f16_e32 v15, v15, v31
	v_pack_b32_f16 v5, v10, v13
	v_pack_b32_f16 v10, v30, v20
	v_mad_u64_u32 v[30:31], null, s14, v32, 0
	v_sub_f16_e32 v36, v6, v36
	v_pack_b32_f16 v6, v44, v8
	ds_write2_b64 v74, v[1:2], v[3:4] offset1:1
	v_pk_add_f16 v2, v41, v7 neg_lo:[0,1] neg_hi:[0,1]
	v_pack_b32_f16 v1, v45, v46
	v_fmac_f16_e32 v76, 0x38b4, v86
	v_pack_b32_f16 v8, v23, v24
	v_pack_b32_f16 v7, v18, v27
	ds_write2_b64 v74, v[1:2], v[5:6] offset0:2 offset1:3
	ds_write_b64 v74, v[7:8] offset:32
	v_mul_lo_u16 v2, v11, 26
	v_mov_b32_e32 v1, v31
	v_fmac_f16_e32 v76, 0x34f2, v75
	v_add_nc_u32_e32 v18, -10, v71
	v_sub_f16_e32 v21, v105, v37
	v_pk_add_f16 v3, v16, v17
	v_mad_u64_u32 v[31:32], null, s15, v32, v[1:2]
	v_sub_f16_e32 v37, v76, v40
	v_or_b32_e32 v32, 32, v71
	v_pk_add_f16 v13, v16, v17 neg_lo:[0,1] neg_hi:[0,1]
	v_pack_b32_f16 v17, v12, v15
	v_cndmask_b32_e32 v15, v18, v71, vcc_lo
	v_lshrrev_b16 v18, 8, v2
	v_add_lshl_u32 v75, v35, v22, 2
	v_pack_b32_f16 v2, v19, v37
	v_pack_b32_f16 v1, v36, v21
	v_mul_lo_u16 v6, v32, 26
	v_mul_lo_u16 v5, v18, 10
	v_pack_b32_f16 v4, v25, v38
	v_pack_b32_f16 v9, v9, v28
	ds_write_b64 v75, v[1:2] offset:32
	v_lshrrev_b16 v19, 8, v6
	v_or_b32_e32 v1, 64, v71
	v_sub_nc_u16 v20, v11, v5
	v_mul_lo_u16 v2, v0, 26
	ds_write2_b64 v75, v[3:4], v[9:10] offset1:1
	v_mul_lo_u16 v5, v19, 10
	v_mul_lo_u16 v6, 0x67, v1
	;; [unrolled: 1-line block ×3, first 2 shown]
	v_lshrrev_b16 v21, 8, v2
	v_mul_i32_i24_e32 v3, 12, v15
	v_sub_nc_u16 v2, v32, v5
	v_lshrrev_b16 v22, 10, v6
	v_and_b32_e32 v5, 0xfc, v7
	v_mul_lo_u16 v7, v21, 10
	v_add_f16_e32 v29, v76, v40
	v_and_b32_e32 v27, 0xff, v2
	v_mul_lo_u16 v2, v22, 10
	v_mul_hi_i32_i24_e32 v4, 12, v15
	v_sub_nc_u16 v9, v0, v7
	v_add_co_u32 v3, vcc_lo, s2, v3
	v_sub_nc_u16 v10, v1, v2
	v_add_co_u32 v5, s8, s2, v5
	v_pack_b32_f16 v16, v26, v14
	v_pack_b32_f16 v12, v47, v29
	v_add_co_ci_u32_e32 v4, vcc_lo, s3, v4, vcc_lo
	v_add_co_ci_u32_e64 v6, null, s3, 0, s8
	v_mad_u64_u32 v[7:8], null, v27, 12, s[2:3]
	v_and_b32_e32 v23, 0xff, v9
	v_and_b32_e32 v24, 0xff, v10
	ds_write2_b64 v75, v[12:13], v[16:17] offset0:2 offset1:3
	s_waitcnt lgkmcnt(0)
	s_barrier
	buffer_gl0_inv
	s_clause 0x1
	global_load_dwordx3 v[0:2], v[3:4], off
	global_load_dwordx3 v[12:14], v[5:6], off
	v_mad_u64_u32 v[3:4], null, v23, 12, s[2:3]
	v_mad_u64_u32 v[16:17], null, v24, 12, s[2:3]
	s_clause 0x2
	global_load_dwordx3 v[9:11], v[7:8], off
	global_load_dwordx3 v[6:8], v[3:4], off
	;; [unrolled: 1-line block ×3, first 2 shown]
	v_cmp_lt_u32_e32 vcc_lo, 9, v71
	v_mov_b32_e32 v25, 40
	v_mad_u16 v17, v18, 40, v20
	v_add_nc_u32_e32 v73, 0x400, v54
	v_add_nc_u32_e32 v26, -8, v71
	v_cndmask_b32_e64 v16, 0, 40, vcc_lo
	v_mul_u32_u24_sdwa v18, v22, v25 dst_sel:DWORD dst_unused:UNUSED_PAD src0_sel:WORD_0 src1_sel:DWORD
	v_cmp_gt_u64_e32 vcc_lo, 40, v[32:33]
	v_mul_u32_u24_sdwa v28, v19, v25 dst_sel:DWORD dst_unused:UNUSED_PAD src0_sel:WORD_0 src1_sel:DWORD
	s_mov_b32 s14, 0x9999999a
	v_add_nc_u32_e32 v15, v15, v16
	v_mul_u32_u24_sdwa v16, v21, v25 dst_sel:DWORD dst_unused:UNUSED_PAD src0_sel:WORD_0 src1_sel:DWORD
	v_mad_u64_u32 v[21:22], null, v71, 12, s[2:3]
	v_cndmask_b32_e32 v44, v26, v32, vcc_lo
	v_add_lshl_u32 v76, v35, v15, 2
	v_add_nc_u32_e32 v15, v16, v23
	v_and_b32_e32 v16, 0xff, v17
	v_add_nc_u32_e32 v17, v18, v24
	v_add_nc_u32_e32 v29, v28, v27
	v_mul_i32_i24_e32 v45, 12, v44
	v_add_lshl_u32 v77, v35, v15, 2
	v_add_lshl_u32 v79, v35, v16, 2
	;; [unrolled: 1-line block ×3, first 2 shown]
	ds_read2_b32 v[15:16], v54 offset0:160 offset1:176
	ds_read2_b32 v[17:18], v54 offset0:224 offset1:240
	ds_read2_b32 v[19:20], v54 offset0:96 offset1:112
	ds_read2_b32 v[23:24], v73 offset1:16
	ds_read2_b32 v[25:26], v54 offset0:192 offset1:208
	ds_read2_b32 v[27:28], v54 offset0:128 offset1:144
	;; [unrolled: 1-line block ×4, first 2 shown]
	ds_read2_b32 v[40:41], v54 offset1:16
	ds_read2_b32 v[42:43], v54 offset0:32 offset1:48
	v_add_lshl_u32 v80, v35, v29, 2
	v_mul_hi_i32_i24_e32 v46, 12, v44
	s_waitcnt vmcnt(0) lgkmcnt(0)
	s_barrier
	buffer_gl0_inv
	s_mov_b32 s15, 0x3f699999
	v_lshrrev_b32_e32 v29, 16, v15
	v_lshrrev_b32_e32 v72, 16, v16
	;; [unrolled: 1-line block ×20, first 2 shown]
	v_mul_f16_sdwa v99, v29, v1 dst_sel:DWORD dst_unused:UNUSED_PAD src0_sel:DWORD src1_sel:WORD_1
	v_mul_f16_sdwa v101, v72, v13 dst_sel:DWORD dst_unused:UNUSED_PAD src0_sel:DWORD src1_sel:WORD_1
	;; [unrolled: 1-line block ×12, first 2 shown]
	v_fma_f16 v15, v15, v1, -v99
	v_fma_f16 v16, v16, v13, -v101
	v_mul_f16_sdwa v99, v88, v8 dst_sel:DWORD dst_unused:UNUSED_PAD src0_sel:DWORD src1_sel:WORD_1
	v_mul_f16_sdwa v101, v91, v5 dst_sel:DWORD dst_unused:UNUSED_PAD src0_sel:DWORD src1_sel:WORD_1
	v_fma_f16 v23, v23, v14, -v106
	v_fma_f16 v24, v24, v11, -v109
	v_mul_f16_sdwa v106, v39, v0 dst_sel:DWORD dst_unused:UNUSED_PAD src0_sel:DWORD src1_sel:WORD_1
	v_mul_f16_sdwa v109, v92, v0 dst_sel:DWORD dst_unused:UNUSED_PAD src0_sel:DWORD src1_sel:WORD_1
	v_mul_f16_sdwa v103, v19, v12 dst_sel:DWORD dst_unused:UNUSED_PAD src0_sel:DWORD src1_sel:WORD_1
	v_mul_f16_sdwa v108, v20, v9 dst_sel:DWORD dst_unused:UNUSED_PAD src0_sel:DWORD src1_sel:WORD_1
	v_mul_f16_sdwa v111, v25, v10 dst_sel:DWORD dst_unused:UNUSED_PAD src0_sel:DWORD src1_sel:WORD_1
	v_mul_f16_sdwa v112, v85, v10 dst_sel:DWORD dst_unused:UNUSED_PAD src0_sel:DWORD src1_sel:WORD_1
	v_mul_f16_sdwa v113, v86, v7 dst_sel:DWORD dst_unused:UNUSED_PAD src0_sel:DWORD src1_sel:WORD_1
	v_mul_f16_sdwa v114, v26, v7 dst_sel:DWORD dst_unused:UNUSED_PAD src0_sel:DWORD src1_sel:WORD_1
	v_mul_f16_sdwa v115, v87, v6 dst_sel:DWORD dst_unused:UNUSED_PAD src0_sel:DWORD src1_sel:WORD_1
	v_mul_f16_sdwa v116, v89, v3 dst_sel:DWORD dst_unused:UNUSED_PAD src0_sel:DWORD src1_sel:WORD_1
	v_mul_f16_sdwa v117, v27, v6 dst_sel:DWORD dst_unused:UNUSED_PAD src0_sel:DWORD src1_sel:WORD_1
	v_mul_f16_sdwa v118, v28, v3 dst_sel:DWORD dst_unused:UNUSED_PAD src0_sel:DWORD src1_sel:WORD_1
	v_mul_f16_sdwa v119, v90, v4 dst_sel:DWORD dst_unused:UNUSED_PAD src0_sel:DWORD src1_sel:WORD_1
	v_mul_f16_sdwa v121, v17, v4 dst_sel:DWORD dst_unused:UNUSED_PAD src0_sel:DWORD src1_sel:WORD_1
	v_fma_f16 v19, v19, v12, -v104
	v_fma_f16 v20, v20, v9, -v107
	v_mul_f16_sdwa v104, v36, v8 dst_sel:DWORD dst_unused:UNUSED_PAD src0_sel:DWORD src1_sel:WORD_1
	v_mul_f16_sdwa v107, v37, v5 dst_sel:DWORD dst_unused:UNUSED_PAD src0_sel:DWORD src1_sel:WORD_1
	v_fmac_f16_e32 v98, v29, v1
	v_fma_f16 v18, v18, v2, -v100
	v_fmac_f16_e32 v120, v47, v2
	v_fma_f16 v29, v36, v8, -v99
	v_fma_f16 v36, v37, v5, -v101
	v_fmac_f16_e32 v106, v92, v0
	v_fma_f16 v37, v39, v0, -v109
	v_fmac_f16_e32 v102, v72, v13
	v_fmac_f16_e32 v103, v81, v12
	;; [unrolled: 1-line block ×3, first 2 shown]
	v_fma_f16 v25, v25, v10, -v112
	v_fmac_f16_e32 v108, v83, v9
	v_fmac_f16_e32 v110, v84, v11
	;; [unrolled: 1-line block ×3, first 2 shown]
	v_fma_f16 v26, v26, v7, -v113
	v_fma_f16 v27, v27, v6, -v115
	;; [unrolled: 1-line block ×4, first 2 shown]
	v_fmac_f16_e32 v114, v86, v7
	v_fmac_f16_e32 v117, v87, v6
	;; [unrolled: 1-line block ×6, first 2 shown]
	v_sub_f16_e32 v15, v40, v15
	v_sub_f16_e32 v39, v93, v98
	;; [unrolled: 1-line block ×20, first 2 shown]
	v_fma_f16 v40, v40, 2.0, -v15
	v_fma_f16 v88, v93, 2.0, -v39
	;; [unrolled: 1-line block ×5, first 2 shown]
	v_sub_f16_e32 v47, v15, v47
	v_add_f16_e32 v18, v39, v18
	v_fma_f16 v19, v19, 2.0, -v23
	v_fma_f16 v90, v103, 2.0, -v72
	v_sub_f16_e32 v72, v16, v72
	v_add_f16_e32 v23, v81, v23
	v_fma_f16 v91, v94, 2.0, -v81
	v_fma_f16 v42, v42, 2.0, -v25
	;; [unrolled: 1-line block ×4, first 2 shown]
	v_add_f16_e32 v24, v83, v24
	v_fma_f16 v93, v95, 2.0, -v83
	v_fma_f16 v43, v43, 2.0, -v26
	;; [unrolled: 1-line block ×3, first 2 shown]
	v_sub_f16_e32 v82, v25, v82
	v_fma_f16 v27, v27, 2.0, -v29
	v_fma_f16 v94, v117, 2.0, -v84
	v_sub_f16_e32 v84, v26, v84
	v_add_f16_e32 v29, v85, v29
	v_fma_f16 v95, v96, 2.0, -v85
	v_fma_f16 v28, v28, 2.0, -v36
	;; [unrolled: 1-line block ×3, first 2 shown]
	v_sub_f16_e32 v86, v17, v86
	v_add_f16_e32 v36, v87, v36
	v_fma_f16 v97, v97, 2.0, -v87
	v_sub_f16_e32 v37, v40, v37
	v_sub_f16_e32 v89, v88, v89
	v_fma_f16 v15, v15, 2.0, -v47
	v_pack_b32_f16 v47, v47, v18
	v_fma_f16 v18, v39, 2.0, -v18
	v_fma_f16 v16, v16, 2.0, -v72
	;; [unrolled: 1-line block ×3, first 2 shown]
	v_sub_f16_e32 v19, v41, v19
	v_sub_f16_e32 v81, v91, v90
	v_pack_b32_f16 v23, v72, v23
	v_fma_f16 v72, v83, 2.0, -v24
	v_sub_f16_e32 v20, v42, v20
	v_sub_f16_e32 v83, v93, v92
	v_fma_f16 v25, v25, 2.0, -v82
	v_pack_b32_f16 v24, v82, v24
	v_fma_f16 v26, v26, 2.0, -v84
	v_fma_f16 v82, v85, 2.0, -v29
	v_sub_f16_e32 v27, v43, v27
	v_sub_f16_e32 v85, v95, v94
	v_pack_b32_f16 v29, v84, v29
	v_fma_f16 v17, v17, 2.0, -v86
	v_fma_f16 v84, v87, 2.0, -v36
	v_pack_b32_f16 v36, v86, v36
	v_sub_f16_e32 v28, v38, v28
	v_sub_f16_e32 v86, v97, v96
	v_pack_b32_f16 v87, v37, v89
	v_fma_f16 v37, v40, 2.0, -v37
	v_fma_f16 v40, v88, 2.0, -v89
	v_pack_b32_f16 v15, v15, v18
	v_pack_b32_f16 v16, v16, v39
	v_fma_f16 v18, v41, 2.0, -v19
	v_fma_f16 v39, v91, 2.0, -v81
	;; [unrolled: 1-line block ×4, first 2 shown]
	v_pack_b32_f16 v19, v19, v81
	v_pack_b32_f16 v25, v25, v72
	v_fma_f16 v43, v43, 2.0, -v27
	v_fma_f16 v72, v95, 2.0, -v85
	;; [unrolled: 1-line block ×4, first 2 shown]
	v_pack_b32_f16 v37, v37, v40
	v_pack_b32_f16 v18, v18, v39
	;; [unrolled: 1-line block ×8, first 2 shown]
	ds_write2_b32 v76, v87, v47 offset0:20 offset1:30
	v_pack_b32_f16 v40, v43, v72
	v_pack_b32_f16 v38, v38, v81
	ds_write2_b32 v76, v37, v15 offset1:10
	ds_write2_b32 v79, v18, v16 offset1:10
	ds_write2_b32 v79, v19, v23 offset0:20 offset1:30
	ds_write2_b32 v80, v39, v25 offset1:10
	ds_write2_b32 v80, v20, v24 offset0:20 offset1:30
	;; [unrolled: 2-line block ×4, first 2 shown]
	v_add_co_u32 v23, vcc_lo, s2, v45
	s_waitcnt lgkmcnt(0)
	s_barrier
	buffer_gl0_inv
	s_clause 0x1
	global_load_dwordx3 v[15:17], v[21:22], off offset:120
	global_load_dwordx3 v[18:20], v[21:22], off offset:312
	v_add_co_ci_u32_e32 v24, vcc_lo, s3, v46, vcc_lo
	s_clause 0x2
	global_load_dwordx3 v[27:29], v[23:24], off offset:120
	global_load_dwordx3 v[24:26], v[21:22], off offset:216
	;; [unrolled: 1-line block ×3, first 2 shown]
	v_cmp_lt_u64_e32 vcc_lo, 39, v[32:33]
	ds_read2_b32 v[36:37], v54 offset0:160 offset1:176
	ds_read2_b32 v[32:33], v54 offset0:96 offset1:112
	ds_read2_b32 v[38:39], v73 offset1:16
	ds_read2_b32 v[40:41], v54 offset0:192 offset1:208
	v_add_nc_u32_e32 v81, 0x200, v54
	v_cndmask_b32_e64 v42, 0, 0xa0, vcc_lo
	v_add_nc_u32_e32 v72, v42, v44
	ds_read2_b32 v[42:43], v54 offset0:128 offset1:144
	ds_read2_b32 v[44:45], v54 offset0:224 offset1:240
	ds_read2_b32 v[46:47], v73 offset0:32 offset1:48
	ds_read2_b32 v[83:84], v54 offset1:16
	ds_read2_b32 v[85:86], v54 offset0:32 offset1:48
	ds_read2_b32 v[87:88], v54 offset0:64 offset1:80
	s_waitcnt vmcnt(0) lgkmcnt(0)
	v_add_lshl_u32 v82, v35, v72, 2
	s_barrier
	buffer_gl0_inv
	v_lshrrev_b32_e32 v91, 16, v33
	v_lshrrev_b32_e32 v35, 16, v36
	;; [unrolled: 1-line block ×20, first 2 shown]
	v_mul_f16_sdwa v107, v35, v16 dst_sel:DWORD dst_unused:UNUSED_PAD src0_sel:DWORD src1_sel:WORD_1
	v_mul_f16_sdwa v108, v72, v19 dst_sel:DWORD dst_unused:UNUSED_PAD src0_sel:DWORD src1_sel:WORD_1
	v_mul_f16_sdwa v109, v36, v16 dst_sel:DWORD dst_unused:UNUSED_PAD src0_sel:DWORD src1_sel:WORD_1
	v_mul_f16_sdwa v110, v37, v19 dst_sel:DWORD dst_unused:UNUSED_PAD src0_sel:DWORD src1_sel:WORD_1
	v_mul_f16_sdwa v114, v90, v20 dst_sel:DWORD dst_unused:UNUSED_PAD src0_sel:DWORD src1_sel:WORD_1
	v_mul_f16_sdwa v115, v91, v27 dst_sel:DWORD dst_unused:UNUSED_PAD src0_sel:DWORD src1_sel:WORD_1
	v_mul_f16_sdwa v117, v92, v29 dst_sel:DWORD dst_unused:UNUSED_PAD src0_sel:DWORD src1_sel:WORD_1
	v_mul_f16_sdwa v120, v93, v28 dst_sel:DWORD dst_unused:UNUSED_PAD src0_sel:DWORD src1_sel:WORD_1
	v_fma_f16 v36, v36, v16, -v107
	v_fma_f16 v37, v37, v19, -v108
	v_mul_f16_sdwa v107, v95, v24 dst_sel:DWORD dst_unused:UNUSED_PAD src0_sel:DWORD src1_sel:WORD_1
	v_mul_f16_sdwa v108, v96, v21 dst_sel:DWORD dst_unused:UNUSED_PAD src0_sel:DWORD src1_sel:WORD_1
	v_mul_f16_sdwa v112, v89, v18 dst_sel:DWORD dst_unused:UNUSED_PAD src0_sel:DWORD src1_sel:WORD_1
	v_mul_f16_sdwa v113, v38, v20 dst_sel:DWORD dst_unused:UNUSED_PAD src0_sel:DWORD src1_sel:WORD_1
	v_mul_f16_sdwa v116, v33, v27 dst_sel:DWORD dst_unused:UNUSED_PAD src0_sel:DWORD src1_sel:WORD_1
	v_mul_f16_sdwa v118, v39, v29 dst_sel:DWORD dst_unused:UNUSED_PAD src0_sel:DWORD src1_sel:WORD_1
	v_mul_f16_sdwa v119, v40, v28 dst_sel:DWORD dst_unused:UNUSED_PAD src0_sel:DWORD src1_sel:WORD_1
	v_mul_f16_sdwa v121, v94, v25 dst_sel:DWORD dst_unused:UNUSED_PAD src0_sel:DWORD src1_sel:WORD_1
	v_fma_f16 v33, v33, v27, -v115
	v_mul_f16_sdwa v115, v42, v24 dst_sel:DWORD dst_unused:UNUSED_PAD src0_sel:DWORD src1_sel:WORD_1
	v_fma_f16 v38, v38, v20, -v114
	v_fma_f16 v39, v39, v29, -v117
	v_mul_f16_sdwa v114, v43, v21 dst_sel:DWORD dst_unused:UNUSED_PAD src0_sel:DWORD src1_sel:WORD_1
	v_mul_f16_sdwa v117, v97, v17 dst_sel:DWORD dst_unused:UNUSED_PAD src0_sel:DWORD src1_sel:WORD_1
	v_fma_f16 v40, v40, v28, -v120
	v_mul_f16_sdwa v120, v98, v22 dst_sel:DWORD dst_unused:UNUSED_PAD src0_sel:DWORD src1_sel:WORD_1
	v_fma_f16 v42, v42, v24, -v107
	v_fma_f16 v43, v43, v21, -v108
	v_mul_f16_sdwa v107, v99, v26 dst_sel:DWORD dst_unused:UNUSED_PAD src0_sel:DWORD src1_sel:WORD_1
	v_mul_f16_sdwa v108, v100, v23 dst_sel:DWORD dst_unused:UNUSED_PAD src0_sel:DWORD src1_sel:WORD_1
	;; [unrolled: 1-line block ×3, first 2 shown]
	v_fma_f16 v32, v32, v18, -v112
	v_mul_f16_sdwa v112, v41, v25 dst_sel:DWORD dst_unused:UNUSED_PAD src0_sel:DWORD src1_sel:WORD_1
	v_fma_f16 v41, v41, v25, -v121
	v_mul_f16_sdwa v121, v45, v17 dst_sel:DWORD dst_unused:UNUSED_PAD src0_sel:DWORD src1_sel:WORD_1
	v_fma_f16 v45, v45, v17, -v117
	v_fma_f16 v117, v44, v22, -v120
	v_mul_f16_sdwa v120, v46, v26 dst_sel:DWORD dst_unused:UNUSED_PAD src0_sel:DWORD src1_sel:WORD_1
	v_fma_f16 v46, v46, v26, -v107
	v_fma_f16 v107, v47, v23, -v108
	v_mul_f16_sdwa v108, v88, v15 dst_sel:DWORD dst_unused:UNUSED_PAD src0_sel:DWORD src1_sel:WORD_1
	v_fmac_f16_e32 v109, v35, v16
	v_mul_f16_sdwa v35, v105, v15 dst_sel:DWORD dst_unused:UNUSED_PAD src0_sel:DWORD src1_sel:WORD_1
	v_mul_f16_sdwa v44, v44, v22 dst_sel:DWORD dst_unused:UNUSED_PAD src0_sel:DWORD src1_sel:WORD_1
	;; [unrolled: 1-line block ×3, first 2 shown]
	v_fmac_f16_e32 v110, v72, v19
	v_fmac_f16_e32 v121, v97, v17
	;; [unrolled: 1-line block ×8, first 2 shown]
	v_fma_f16 v35, v88, v15, -v35
	v_fmac_f16_e32 v115, v95, v24
	v_fmac_f16_e32 v112, v94, v25
	;; [unrolled: 1-line block ×6, first 2 shown]
	v_sub_f16_e32 v36, v83, v36
	v_sub_f16_e32 v37, v84, v37
	;; [unrolled: 1-line block ×20, first 2 shown]
	v_fma_f16 v83, v83, 2.0, -v36
	v_fma_f16 v84, v84, 2.0, -v37
	;; [unrolled: 1-line block ×4, first 2 shown]
	v_sub_f16_e32 v88, v36, v88
	v_add_f16_e32 v45, v89, v45
	v_fma_f16 v98, v101, 2.0, -v89
	v_fma_f16 v32, v32, 2.0, -v38
	;; [unrolled: 1-line block ×3, first 2 shown]
	v_sub_f16_e32 v90, v37, v90
	v_add_f16_e32 v38, v91, v38
	v_fma_f16 v100, v102, 2.0, -v91
	v_fma_f16 v33, v33, 2.0, -v39
	;; [unrolled: 1-line block ×3, first 2 shown]
	v_add_f16_e32 v39, v93, v39
	v_sub_f16_e32 v92, v40, v92
	v_fma_f16 v85, v85, 2.0, -v40
	v_fma_f16 v87, v87, 2.0, -v72
	;; [unrolled: 1-line block ×5, first 2 shown]
	v_sub_f16_e32 v94, v41, v94
	v_add_f16_e32 v46, v95, v46
	v_fma_f16 v43, v43, 2.0, -v96
	v_fma_f16 v105, v114, 2.0, -v47
	v_sub_f16_e32 v47, v72, v47
	v_add_f16_e32 v96, v44, v96
	v_fma_f16 v106, v106, 2.0, -v44
	v_fma_f16 v86, v86, 2.0, -v41
	v_fma_f16 v104, v104, 2.0, -v95
	v_fma_f16 v36, v36, 2.0, -v88
	v_fma_f16 v89, v89, 2.0, -v45
	v_pack_b32_f16 v45, v88, v45
	v_fma_f16 v37, v37, 2.0, -v90
	v_fma_f16 v88, v91, 2.0, -v38
	v_pack_b32_f16 v38, v90, v38
	v_fma_f16 v90, v93, 2.0, -v39
	v_fma_f16 v40, v40, 2.0, -v92
	v_pack_b32_f16 v39, v92, v39
	v_sub_f16_e32 v35, v83, v35
	v_sub_f16_e32 v92, v98, v97
	v_sub_f16_e32 v32, v84, v32
	v_sub_f16_e32 v93, v100, v99
	v_fma_f16 v41, v41, 2.0, -v94
	v_fma_f16 v91, v95, 2.0, -v46
	v_pack_b32_f16 v46, v94, v46
	v_fma_f16 v72, v72, 2.0, -v47
	v_fma_f16 v44, v44, 2.0, -v96
	v_pack_b32_f16 v47, v47, v96
	v_sub_f16_e32 v33, v85, v33
	v_sub_f16_e32 v94, v102, v101
	;; [unrolled: 1-line block ×6, first 2 shown]
	v_pack_b32_f16 v36, v36, v89
	v_fma_f16 v83, v83, 2.0, -v35
	v_fma_f16 v89, v98, 2.0, -v92
	ds_write_b32 v54, v45 offset:480
	v_fma_f16 v45, v84, 2.0, -v32
	v_fma_f16 v84, v100, 2.0, -v93
	v_pack_b32_f16 v35, v35, v92
	v_pack_b32_f16 v37, v37, v88
	v_fma_f16 v85, v85, 2.0, -v33
	v_fma_f16 v88, v102, 2.0, -v94
	;; [unrolled: 1-line block ×4, first 2 shown]
	v_pack_b32_f16 v40, v40, v90
	v_fma_f16 v86, v86, 2.0, -v42
	v_fma_f16 v90, v104, 2.0, -v95
	v_pack_b32_f16 v44, v72, v44
	v_pack_b32_f16 v72, v83, v89
	;; [unrolled: 1-line block ×4, first 2 shown]
	ds_write_b32 v54, v36 offset:160
	ds_write_b32 v54, v35 offset:320
	v_pack_b32_f16 v35, v85, v88
	v_pack_b32_f16 v83, v87, v92
	;; [unrolled: 1-line block ×7, first 2 shown]
	ds_write2_b32 v54, v72, v45 offset1:16
	ds_write_b32 v54, v37 offset:224
	ds_write_b32 v54, v32 offset:384
	;; [unrolled: 1-line block ×3, first 2 shown]
	ds_write2_b32 v82, v35, v40 offset1:40
	ds_write2_b32 v82, v33, v39 offset0:80 offset1:120
	ds_write2_b32 v54, v36, v83 offset0:168 offset1:184
	;; [unrolled: 1-line block ×5, first 2 shown]
	s_waitcnt lgkmcnt(0)
	s_barrier
	buffer_gl0_inv
	s_clause 0x9
	global_load_dword v83, v34, s[2:3] offset:600
	global_load_dword v84, v34, s[2:3] offset:664
	;; [unrolled: 1-line block ×10, first 2 shown]
	ds_read2_b32 v[32:33], v54 offset0:160 offset1:176
	ds_read2_b32 v[35:36], v54 offset0:192 offset1:208
	;; [unrolled: 1-line block ×3, first 2 shown]
	ds_read2_b32 v[39:40], v73 offset1:16
	ds_read2_b32 v[41:42], v73 offset0:32 offset1:48
	ds_read2_b32 v[43:44], v54 offset1:16
	ds_read2_b32 v[45:46], v54 offset0:32 offset1:48
	ds_read2_b32 v[93:94], v54 offset0:64 offset1:80
	;; [unrolled: 1-line block ×4, first 2 shown]
	v_add_nc_u32_e32 v72, 0x200, v53
	s_waitcnt lgkmcnt(9)
	v_lshrrev_b32_e32 v47, 16, v32
	v_lshrrev_b32_e32 v99, 16, v33
	s_waitcnt lgkmcnt(8)
	v_lshrrev_b32_e32 v100, 16, v35
	s_waitcnt lgkmcnt(7)
	v_lshrrev_b32_e32 v102, 16, v37
	v_lshrrev_b32_e32 v103, 16, v38
	;; [unrolled: 1-line block ×3, first 2 shown]
	s_waitcnt lgkmcnt(6)
	v_lshrrev_b32_e32 v104, 16, v39
	v_lshrrev_b32_e32 v105, 16, v40
	s_waitcnt lgkmcnt(5)
	v_lshrrev_b32_e32 v106, 16, v41
	v_lshrrev_b32_e32 v107, 16, v42
	;; [unrolled: 3-line block ×3, first 2 shown]
	s_waitcnt lgkmcnt(3)
	v_lshrrev_b32_e32 v110, 16, v45
	s_waitcnt vmcnt(9)
	v_mul_f16_sdwa v111, v47, v83 dst_sel:DWORD dst_unused:UNUSED_PAD src0_sel:DWORD src1_sel:WORD_1
	s_waitcnt vmcnt(8)
	v_mul_f16_sdwa v112, v99, v84 dst_sel:DWORD dst_unused:UNUSED_PAD src0_sel:DWORD src1_sel:WORD_1
	;; [unrolled: 2-line block ×3, first 2 shown]
	v_mul_f16_sdwa v113, v32, v83 dst_sel:DWORD dst_unused:UNUSED_PAD src0_sel:DWORD src1_sel:WORD_1
	s_waitcnt vmcnt(5)
	v_mul_f16_sdwa v119, v102, v87 dst_sel:DWORD dst_unused:UNUSED_PAD src0_sel:DWORD src1_sel:WORD_1
	s_waitcnt vmcnt(4)
	v_mul_f16_sdwa v120, v103, v88 dst_sel:DWORD dst_unused:UNUSED_PAD src0_sel:DWORD src1_sel:WORD_1
	v_mul_f16_sdwa v114, v33, v84 dst_sel:DWORD dst_unused:UNUSED_PAD src0_sel:DWORD src1_sel:WORD_1
	v_mul_f16_sdwa v116, v101, v86 dst_sel:DWORD dst_unused:UNUSED_PAD src0_sel:DWORD src1_sel:WORD_1
	v_mul_f16_sdwa v117, v35, v85 dst_sel:DWORD dst_unused:UNUSED_PAD src0_sel:DWORD src1_sel:WORD_1
	v_mul_f16_sdwa v121, v37, v87 dst_sel:DWORD dst_unused:UNUSED_PAD src0_sel:DWORD src1_sel:WORD_1
	v_fma_f16 v32, v32, v83, -v111
	v_fma_f16 v33, v33, v84, -v112
	v_mul_f16_sdwa v111, v38, v88 dst_sel:DWORD dst_unused:UNUSED_PAD src0_sel:DWORD src1_sel:WORD_1
	s_waitcnt vmcnt(3)
	v_mul_f16_sdwa v112, v104, v89 dst_sel:DWORD dst_unused:UNUSED_PAD src0_sel:DWORD src1_sel:WORD_1
	v_fma_f16 v35, v35, v85, -v115
	s_waitcnt vmcnt(2)
	v_mul_f16_sdwa v115, v105, v90 dst_sel:DWORD dst_unused:UNUSED_PAD src0_sel:DWORD src1_sel:WORD_1
	v_fma_f16 v37, v37, v87, -v119
	v_fma_f16 v38, v38, v88, -v120
	s_waitcnt vmcnt(1)
	v_mul_f16_sdwa v119, v106, v91 dst_sel:DWORD dst_unused:UNUSED_PAD src0_sel:DWORD src1_sel:WORD_1
	s_waitcnt vmcnt(0)
	v_mul_f16_sdwa v120, v107, v92 dst_sel:DWORD dst_unused:UNUSED_PAD src0_sel:DWORD src1_sel:WORD_1
	v_mul_f16_sdwa v118, v36, v86 dst_sel:DWORD dst_unused:UNUSED_PAD src0_sel:DWORD src1_sel:WORD_1
	v_fma_f16 v36, v36, v86, -v116
	v_mul_f16_sdwa v116, v39, v89 dst_sel:DWORD dst_unused:UNUSED_PAD src0_sel:DWORD src1_sel:WORD_1
	v_fma_f16 v39, v39, v89, -v112
	v_fma_f16 v112, v40, v90, -v115
	v_mul_f16_sdwa v40, v40, v90 dst_sel:DWORD dst_unused:UNUSED_PAD src0_sel:DWORD src1_sel:WORD_1
	v_mul_f16_sdwa v115, v41, v91 dst_sel:DWORD dst_unused:UNUSED_PAD src0_sel:DWORD src1_sel:WORD_1
	v_fma_f16 v41, v41, v91, -v119
	v_fma_f16 v119, v42, v92, -v120
	v_mul_f16_sdwa v42, v42, v92 dst_sel:DWORD dst_unused:UNUSED_PAD src0_sel:DWORD src1_sel:WORD_1
	v_fmac_f16_e32 v113, v47, v83
	v_fmac_f16_e32 v114, v99, v84
	v_lshrrev_b32_e32 v120, 16, v46
	s_waitcnt lgkmcnt(2)
	v_lshrrev_b32_e32 v47, 16, v93
	v_lshrrev_b32_e32 v99, 16, v94
	v_fmac_f16_e32 v117, v100, v85
	s_waitcnt lgkmcnt(1)
	v_lshrrev_b32_e32 v100, 16, v95
	v_fmac_f16_e32 v118, v101, v86
	v_lshrrev_b32_e32 v101, 16, v96
	v_fmac_f16_e32 v121, v102, v87
	s_waitcnt lgkmcnt(0)
	v_lshrrev_b32_e32 v102, 16, v97
	v_fmac_f16_e32 v111, v103, v88
	v_lshrrev_b32_e32 v103, 16, v98
	v_fmac_f16_e32 v116, v104, v89
	v_fmac_f16_e32 v40, v105, v90
	;; [unrolled: 1-line block ×4, first 2 shown]
	v_sub_f16_e32 v32, v43, v32
	v_sub_f16_e32 v104, v108, v113
	;; [unrolled: 1-line block ×20, first 2 shown]
	v_fma_f16 v43, v43, 2.0, -v32
	v_fma_f16 v108, v108, 2.0, -v104
	;; [unrolled: 1-line block ×3, first 2 shown]
	v_pack_b32_f16 v32, v32, v104
	v_fma_f16 v104, v109, 2.0, -v105
	v_fma_f16 v45, v45, 2.0, -v35
	;; [unrolled: 1-line block ×3, first 2 shown]
	v_pack_b32_f16 v33, v33, v105
	v_fma_f16 v105, v110, 2.0, -v106
	v_pack_b32_f16 v35, v35, v106
	v_fma_f16 v106, v120, 2.0, -v107
	;; [unrolled: 2-line block ×4, first 2 shown]
	v_fma_f16 v93, v94, 2.0, -v38
	v_fma_f16 v94, v99, 2.0, -v111
	;; [unrolled: 1-line block ×3, first 2 shown]
	v_pack_b32_f16 v100, v39, v114
	v_fma_f16 v39, v95, 2.0, -v39
	v_fma_f16 v95, v96, 2.0, -v112
	;; [unrolled: 1-line block ×4, first 2 shown]
	v_pack_b32_f16 v102, v41, v115
	v_fma_f16 v41, v97, 2.0, -v41
	v_fma_f16 v97, v98, 2.0, -v116
	;; [unrolled: 1-line block ×3, first 2 shown]
	v_pack_b32_f16 v43, v43, v108
	v_pack_b32_f16 v44, v44, v104
	;; [unrolled: 1-line block ×13, first 2 shown]
	ds_write_b32 v54, v43
	ds_write_b32 v53, v32 offset:640
	ds_write_b32 v54, v44 offset:64
	;; [unrolled: 1-line block ×6, first 2 shown]
	ds_write2_b32 v53, v36, v107 offset0:208 offset1:224
	ds_write2_b32 v53, v37, v47 offset0:64 offset1:80
	;; [unrolled: 1-line block ×6, first 2 shown]
	ds_write_b32 v53, v42 offset:1216
	s_waitcnt lgkmcnt(0)
	s_barrier
	buffer_gl0_inv
	s_clause 0x13
	global_load_dword v32, v34, s[0:1] offset:1280
	global_load_dword v36, v34, s[6:7] offset:128
	;; [unrolled: 1-line block ×20, first 2 shown]
	ds_read_b32 v33, v54
	ds_read_b32 v100, v54 offset:128
	s_load_dwordx2 s[0:1], s[4:5], 0x38
	s_waitcnt lgkmcnt(0)
	v_lshrrev_b32_e32 v34, 16, v33
	s_waitcnt vmcnt(19)
	v_mul_f16_sdwa v35, v34, v32 dst_sel:DWORD dst_unused:UNUSED_PAD src0_sel:DWORD src1_sel:WORD_1
	v_mul_f16_sdwa v101, v33, v32 dst_sel:DWORD dst_unused:UNUSED_PAD src0_sel:DWORD src1_sel:WORD_1
	s_waitcnt vmcnt(18)
	v_mul_f16_sdwa v103, v100, v36 dst_sel:DWORD dst_unused:UNUSED_PAD src0_sel:DWORD src1_sel:WORD_1
	v_fma_f16 v33, v33, v32, -v35
	v_fmac_f16_e32 v101, v34, v32
	v_pack_b32_f16 v32, v33, v101
	v_lshrrev_b32_e32 v101, 16, v100
	ds_write_b32 v54, v32
	ds_read2_b32 v[32:33], v54 offset0:64 offset1:96
	ds_read2_b32 v[34:35], v54 offset0:128 offset1:160
	v_mul_f16_sdwa v102, v101, v36 dst_sel:DWORD dst_unused:UNUSED_PAD src0_sel:DWORD src1_sel:WORD_1
	v_fmac_f16_e32 v103, v101, v36
	v_fma_f16 v100, v100, v36, -v102
	s_waitcnt lgkmcnt(1)
	v_lshrrev_b32_e32 v36, 16, v32
	v_lshrrev_b32_e32 v101, 16, v33
	s_waitcnt vmcnt(17)
	v_mul_f16_sdwa v102, v32, v37 dst_sel:DWORD dst_unused:UNUSED_PAD src0_sel:DWORD src1_sel:WORD_1
	s_waitcnt vmcnt(16)
	v_mul_f16_sdwa v104, v33, v38 dst_sel:DWORD dst_unused:UNUSED_PAD src0_sel:DWORD src1_sel:WORD_1
	s_waitcnt lgkmcnt(0)
	v_lshrrev_b32_e32 v105, 16, v34
	v_lshrrev_b32_e32 v106, 16, v35
	v_mul_f16_sdwa v109, v36, v37 dst_sel:DWORD dst_unused:UNUSED_PAD src0_sel:DWORD src1_sel:WORD_1
	v_mul_f16_sdwa v110, v101, v38 dst_sel:DWORD dst_unused:UNUSED_PAD src0_sel:DWORD src1_sel:WORD_1
	s_waitcnt vmcnt(15)
	v_mul_f16_sdwa v107, v34, v39 dst_sel:DWORD dst_unused:UNUSED_PAD src0_sel:DWORD src1_sel:WORD_1
	s_waitcnt vmcnt(14)
	v_mul_f16_sdwa v108, v35, v40 dst_sel:DWORD dst_unused:UNUSED_PAD src0_sel:DWORD src1_sel:WORD_1
	v_fmac_f16_e32 v102, v36, v37
	v_fmac_f16_e32 v104, v101, v38
	v_mul_f16_sdwa v36, v105, v39 dst_sel:DWORD dst_unused:UNUSED_PAD src0_sel:DWORD src1_sel:WORD_1
	v_mul_f16_sdwa v101, v106, v40 dst_sel:DWORD dst_unused:UNUSED_PAD src0_sel:DWORD src1_sel:WORD_1
	v_fma_f16 v32, v32, v37, -v109
	v_fma_f16 v33, v33, v38, -v110
	v_fmac_f16_e32 v107, v105, v39
	v_fmac_f16_e32 v108, v106, v40
	v_fma_f16 v34, v34, v39, -v36
	v_fma_f16 v35, v35, v40, -v101
	v_pack_b32_f16 v36, v100, v103
	v_pack_b32_f16 v32, v32, v102
	v_pack_b32_f16 v33, v33, v104
	v_pack_b32_f16 v34, v34, v107
	v_pack_b32_f16 v35, v35, v108
	ds_write_b32 v54, v36 offset:128
	ds_write2_b32 v54, v32, v33 offset0:64 offset1:96
	ds_write2_b32 v54, v34, v35 offset0:128 offset1:160
	ds_read_b32 v32, v53 offset:768
	ds_read_b32 v33, v53 offset:896
	;; [unrolled: 1-line block ×4, first 2 shown]
	s_waitcnt lgkmcnt(3)
	v_lshrrev_b32_e32 v36, 16, v32
	s_waitcnt vmcnt(13)
	v_mul_f16_sdwa v37, v32, v41 dst_sel:DWORD dst_unused:UNUSED_PAD src0_sel:DWORD src1_sel:WORD_1
	s_waitcnt lgkmcnt(2)
	v_lshrrev_b32_e32 v38, 16, v33
	s_waitcnt vmcnt(12)
	v_mul_f16_sdwa v39, v33, v42 dst_sel:DWORD dst_unused:UNUSED_PAD src0_sel:DWORD src1_sel:WORD_1
	;; [unrolled: 4-line block ×3, first 2 shown]
	s_waitcnt lgkmcnt(0)
	v_lshrrev_b32_e32 v101, 16, v35
	v_mul_f16_sdwa v103, v36, v41 dst_sel:DWORD dst_unused:UNUSED_PAD src0_sel:DWORD src1_sel:WORD_1
	v_fmac_f16_e32 v37, v36, v41
	v_mul_f16_sdwa v36, v38, v42 dst_sel:DWORD dst_unused:UNUSED_PAD src0_sel:DWORD src1_sel:WORD_1
	v_fmac_f16_e32 v39, v38, v42
	v_mul_f16_sdwa v38, v40, v43 dst_sel:DWORD dst_unused:UNUSED_PAD src0_sel:DWORD src1_sel:WORD_1
	s_waitcnt vmcnt(10)
	v_mul_f16_sdwa v102, v35, v44 dst_sel:DWORD dst_unused:UNUSED_PAD src0_sel:DWORD src1_sel:WORD_1
	v_fmac_f16_e32 v100, v40, v43
	v_mul_f16_sdwa v40, v101, v44 dst_sel:DWORD dst_unused:UNUSED_PAD src0_sel:DWORD src1_sel:WORD_1
	v_fma_f16 v32, v32, v41, -v103
	v_fma_f16 v33, v33, v42, -v36
	;; [unrolled: 1-line block ×3, first 2 shown]
	v_fmac_f16_e32 v102, v101, v44
	v_fma_f16 v35, v35, v44, -v40
	v_pack_b32_f16 v32, v32, v37
	v_pack_b32_f16 v33, v33, v39
	;; [unrolled: 1-line block ×4, first 2 shown]
	ds_write_b32 v53, v32 offset:768
	ds_write_b32 v53, v33 offset:896
	;; [unrolled: 1-line block ×4, first 2 shown]
	ds_read_b32 v32, v54 offset:64
	ds_read_b32 v33, v54 offset:192
	s_waitcnt lgkmcnt(1)
	v_lshrrev_b32_e32 v34, 16, v32
	s_waitcnt lgkmcnt(0)
	v_lshrrev_b32_e32 v35, 16, v33
	s_waitcnt vmcnt(6)
	v_mul_f16_sdwa v36, v32, v93 dst_sel:DWORD dst_unused:UNUSED_PAD src0_sel:DWORD src1_sel:WORD_1
	v_mul_f16_sdwa v37, v33, v47 dst_sel:DWORD dst_unused:UNUSED_PAD src0_sel:DWORD src1_sel:WORD_1
	;; [unrolled: 1-line block ×4, first 2 shown]
	v_fmac_f16_e32 v36, v34, v93
	v_fmac_f16_e32 v37, v35, v47
	v_fma_f16 v32, v32, v93, -v38
	v_fma_f16 v33, v33, v47, -v39
	v_pack_b32_f16 v32, v32, v36
	v_pack_b32_f16 v33, v33, v37
	ds_write_b32 v54, v32 offset:64
	ds_write_b32 v54, v33 offset:192
	ds_read2_b32 v[32:33], v53 offset0:80 offset1:112
	ds_read_b32 v34, v53 offset:576
	s_waitcnt lgkmcnt(1)
	v_lshrrev_b32_e32 v35, 16, v32
	v_mul_f16_sdwa v36, v32, v46 dst_sel:DWORD dst_unused:UNUSED_PAD src0_sel:DWORD src1_sel:WORD_1
	v_lshrrev_b32_e32 v37, 16, v33
	s_waitcnt lgkmcnt(0)
	v_lshrrev_b32_e32 v39, 16, v34
	v_mul_f16_sdwa v38, v33, v45 dst_sel:DWORD dst_unused:UNUSED_PAD src0_sel:DWORD src1_sel:WORD_1
	s_waitcnt vmcnt(2)
	v_mul_f16_sdwa v40, v34, v97 dst_sel:DWORD dst_unused:UNUSED_PAD src0_sel:DWORD src1_sel:WORD_1
	v_fmac_f16_e32 v36, v35, v46
	v_mul_f16_sdwa v35, v35, v46 dst_sel:DWORD dst_unused:UNUSED_PAD src0_sel:DWORD src1_sel:WORD_1
	v_mul_f16_sdwa v41, v37, v45 dst_sel:DWORD dst_unused:UNUSED_PAD src0_sel:DWORD src1_sel:WORD_1
	;; [unrolled: 1-line block ×3, first 2 shown]
	v_fmac_f16_e32 v38, v37, v45
	v_fmac_f16_e32 v40, v39, v97
	v_fma_f16 v32, v32, v46, -v35
	v_fma_f16 v33, v33, v45, -v41
	v_fma_f16 v34, v34, v97, -v42
	v_pack_b32_f16 v32, v32, v36
	v_pack_b32_f16 v33, v33, v38
	;; [unrolled: 1-line block ×3, first 2 shown]
	ds_write2_b32 v53, v32, v33 offset0:80 offset1:112
	ds_write_b32 v53, v34 offset:576
	ds_read_b32 v32, v54 offset:704
	s_waitcnt lgkmcnt(0)
	v_lshrrev_b32_e32 v33, 16, v32
	v_mul_f16_sdwa v34, v32, v96 dst_sel:DWORD dst_unused:UNUSED_PAD src0_sel:DWORD src1_sel:WORD_1
	v_mul_f16_sdwa v35, v33, v96 dst_sel:DWORD dst_unused:UNUSED_PAD src0_sel:DWORD src1_sel:WORD_1
	v_fmac_f16_e32 v34, v33, v96
	v_fma_f16 v32, v32, v96, -v35
	v_pack_b32_f16 v32, v32, v34
	ds_write_b32 v54, v32 offset:704
	ds_read_b32 v32, v53 offset:832
	ds_read_b32 v33, v53 offset:960
	;; [unrolled: 1-line block ×4, first 2 shown]
	s_waitcnt lgkmcnt(3)
	v_lshrrev_b32_e32 v36, 16, v32
	v_mul_f16_sdwa v37, v32, v95 dst_sel:DWORD dst_unused:UNUSED_PAD src0_sel:DWORD src1_sel:WORD_1
	s_waitcnt lgkmcnt(2)
	v_lshrrev_b32_e32 v38, 16, v33
	v_mul_f16_sdwa v39, v33, v94 dst_sel:DWORD dst_unused:UNUSED_PAD src0_sel:DWORD src1_sel:WORD_1
	s_waitcnt lgkmcnt(1)
	v_lshrrev_b32_e32 v40, 16, v34
	s_waitcnt vmcnt(0)
	v_mul_f16_sdwa v41, v34, v99 dst_sel:DWORD dst_unused:UNUSED_PAD src0_sel:DWORD src1_sel:WORD_1
	s_waitcnt lgkmcnt(0)
	v_lshrrev_b32_e32 v42, 16, v35
	v_fmac_f16_e32 v37, v36, v95
	v_mul_f16_sdwa v36, v36, v95 dst_sel:DWORD dst_unused:UNUSED_PAD src0_sel:DWORD src1_sel:WORD_1
	v_fmac_f16_e32 v39, v38, v94
	v_mul_f16_sdwa v38, v38, v94 dst_sel:DWORD dst_unused:UNUSED_PAD src0_sel:DWORD src1_sel:WORD_1
	;; [unrolled: 2-line block ×3, first 2 shown]
	v_mul_f16_sdwa v43, v35, v98 dst_sel:DWORD dst_unused:UNUSED_PAD src0_sel:DWORD src1_sel:WORD_1
	v_mul_f16_sdwa v44, v42, v98 dst_sel:DWORD dst_unused:UNUSED_PAD src0_sel:DWORD src1_sel:WORD_1
	v_fma_f16 v32, v32, v95, -v36
	v_fma_f16 v33, v33, v94, -v38
	;; [unrolled: 1-line block ×3, first 2 shown]
	v_fmac_f16_e32 v43, v42, v98
	v_fma_f16 v35, v35, v98, -v44
	v_pack_b32_f16 v32, v32, v37
	v_pack_b32_f16 v33, v33, v39
	;; [unrolled: 1-line block ×4, first 2 shown]
	ds_write_b32 v53, v32 offset:832
	ds_write_b32 v53, v33 offset:960
	;; [unrolled: 1-line block ×4, first 2 shown]
	s_waitcnt lgkmcnt(0)
	s_barrier
	buffer_gl0_inv
	ds_read2_b32 v[40:41], v54 offset0:64 offset1:96
	ds_read2_b32 v[38:39], v54 offset0:128 offset1:160
	;; [unrolled: 1-line block ×3, first 2 shown]
	ds_read2_b32 v[42:43], v54 offset1:16
	ds_read2_b32 v[34:35], v72 offset0:112 offset1:128
	ds_read2_b32 v[46:47], v53 offset0:208 offset1:224
	;; [unrolled: 1-line block ×5, first 2 shown]
	ds_read_b32 v130, v53 offset:1216
	ds_read_b32 v131, v54 offset:704
	s_waitcnt lgkmcnt(0)
	s_barrier
	buffer_gl0_inv
	v_sub_f16_e32 v95, v38, v40
	v_add_f16_sdwa v96, v38, v33 dst_sel:DWORD dst_unused:UNUSED_PAD src0_sel:WORD_1 src1_sel:WORD_1
	v_pk_add_f16 v116, v42, v40
	v_add_f16_sdwa v98, v40, v35 dst_sel:DWORD dst_unused:UNUSED_PAD src0_sel:WORD_1 src1_sel:WORD_1
	v_sub_f16_sdwa v99, v38, v40 dst_sel:DWORD dst_unused:UNUSED_PAD src0_sel:WORD_1 src1_sel:WORD_1
	v_add_f16_e32 v105, v40, v35
	v_sub_f16_sdwa v106, v38, v33 dst_sel:DWORD dst_unused:UNUSED_PAD src0_sel:WORD_1 src1_sel:WORD_1
	v_sub_f16_sdwa v107, v40, v35 dst_sel:DWORD dst_unused:UNUSED_PAD src0_sel:WORD_1 src1_sel:WORD_1
	v_sub_f16_e32 v108, v38, v33
	v_sub_f16_e32 v109, v40, v35
	v_add_f16_e32 v110, v41, v45
	v_sub_f16_e32 v115, v40, v38
	v_pk_add_f16 v117, v36, v41
	v_sub_f16_sdwa v40, v40, v38 dst_sel:DWORD dst_unused:UNUSED_PAD src0_sel:WORD_1 src1_sel:WORD_1
	v_add_f16_e32 v119, v38, v33
	v_add_f16_e32 v120, v39, v47
	v_pk_add_f16 v38, v116, v38
	v_pk_add_f16 v116, v43, v93
	v_sub_f16_e32 v101, v39, v41
	v_add_f16_sdwa v102, v39, v47 dst_sel:DWORD dst_unused:UNUSED_PAD src0_sel:WORD_1 src1_sel:WORD_1
	v_add_f16_sdwa v103, v41, v45 dst_sel:DWORD dst_unused:UNUSED_PAD src0_sel:WORD_1 src1_sel:WORD_1
	v_sub_f16_sdwa v104, v39, v41 dst_sel:DWORD dst_unused:UNUSED_PAD src0_sel:WORD_1 src1_sel:WORD_1
	v_sub_f16_sdwa v111, v39, v47 dst_sel:DWORD dst_unused:UNUSED_PAD src0_sel:WORD_1 src1_sel:WORD_1
	;; [unrolled: 1-line block ×3, first 2 shown]
	v_sub_f16_e32 v113, v39, v47
	v_sub_f16_e32 v114, v41, v45
	;; [unrolled: 1-line block ×3, first 2 shown]
	v_sub_f16_sdwa v41, v41, v39 dst_sel:DWORD dst_unused:UNUSED_PAD src0_sel:WORD_1 src1_sel:WORD_1
	v_pk_add_f16 v39, v117, v39
	v_pk_add_f16 v116, v116, v32
	v_fma_f16 v110, -0.5, v110, v36
	v_fma_f16 v120, -0.5, v120, v36
	v_add_f16_e32 v132, v94, v130
	v_add_f16_e32 v133, v131, v34
	v_lshrrev_b32_e32 v134, 16, v36
	v_pk_add_f16 v36, v37, v94
	v_add_f16_e32 v121, v32, v46
	v_pk_add_f16 v39, v39, v47
	v_pk_add_f16 v116, v116, v46
	v_fma_f16 v132, -0.5, v132, v37
	v_fma_f16 v133, -0.5, v133, v37
	v_lshrrev_b32_e32 v135, 16, v37
	v_pk_add_f16 v37, v38, v33
	v_pk_add_f16 v36, v36, v131
	v_lshrrev_b32_e32 v97, 16, v42
	v_sub_f16_e32 v100, v47, v45
	v_add_f16_e32 v117, v93, v44
	v_fma_f16 v105, -0.5, v105, v42
	v_fma_f16 v42, -0.5, v119, v42
	;; [unrolled: 1-line block ×3, first 2 shown]
	v_sub_f16_sdwa v121, v47, v45 dst_sel:DWORD dst_unused:UNUSED_PAD src0_sel:WORD_1 src1_sel:WORD_1
	v_sub_f16_e32 v122, v45, v47
	v_sub_f16_sdwa v47, v45, v47 dst_sel:DWORD dst_unused:UNUSED_PAD src0_sel:WORD_1 src1_sel:WORD_1
	v_sub_f16_sdwa v123, v32, v46 dst_sel:DWORD dst_unused:UNUSED_PAD src0_sel:WORD_1 src1_sel:WORD_1
	v_sub_f16_e32 v124, v44, v46
	v_sub_f16_e32 v125, v46, v44
	v_add_f16_sdwa v126, v32, v46 dst_sel:DWORD dst_unused:UNUSED_PAD src0_sel:WORD_1 src1_sel:WORD_1
	v_sub_f16_e32 v127, v32, v46
	v_sub_f16_sdwa v128, v44, v46 dst_sel:DWORD dst_unused:UNUSED_PAD src0_sel:WORD_1 src1_sel:WORD_1
	v_sub_f16_sdwa v46, v46, v44 dst_sel:DWORD dst_unused:UNUSED_PAD src0_sel:WORD_1 src1_sel:WORD_1
	v_pk_add_f16 v39, v39, v45
	v_pk_add_f16 v45, v116, v44
	v_sub_f16_sdwa v116, v93, v44 dst_sel:DWORD dst_unused:UNUSED_PAD src0_sel:WORD_1 src1_sel:WORD_1
	v_sub_f16_e32 v129, v93, v44
	v_add_f16_sdwa v44, v93, v44 dst_sel:DWORD dst_unused:UNUSED_PAD src0_sel:WORD_1 src1_sel:WORD_1
	v_sub_f16_e32 v38, v33, v35
	v_sub_f16_sdwa v136, v33, v35 dst_sel:DWORD dst_unused:UNUSED_PAD src0_sel:WORD_1 src1_sel:WORD_1
	v_sub_f16_e32 v137, v35, v33
	v_sub_f16_sdwa v33, v35, v33 dst_sel:DWORD dst_unused:UNUSED_PAD src0_sel:WORD_1 src1_sel:WORD_1
	;; [unrolled: 2-line block ×4, first 2 shown]
	v_sub_f16_e32 v93, v131, v94
	v_add_f16_sdwa v141, v94, v130 dst_sel:DWORD dst_unused:UNUSED_PAD src0_sel:WORD_1 src1_sel:WORD_1
	v_sub_f16_sdwa v142, v131, v94 dst_sel:DWORD dst_unused:UNUSED_PAD src0_sel:WORD_1 src1_sel:WORD_1
	v_sub_f16_sdwa v143, v94, v130 dst_sel:DWORD dst_unused:UNUSED_PAD src0_sel:WORD_1 src1_sel:WORD_1
	v_sub_f16_e32 v144, v94, v130
	v_sub_f16_e32 v145, v94, v131
	v_sub_f16_sdwa v94, v94, v131 dst_sel:DWORD dst_unused:UNUSED_PAD src0_sel:WORD_1 src1_sel:WORD_1
	v_add_f16_sdwa v146, v131, v34 dst_sel:DWORD dst_unused:UNUSED_PAD src0_sel:WORD_1 src1_sel:WORD_1
	v_sub_f16_sdwa v147, v131, v34 dst_sel:DWORD dst_unused:UNUSED_PAD src0_sel:WORD_1 src1_sel:WORD_1
	v_sub_f16_e32 v131, v131, v34
	v_pk_add_f16 v36, v36, v34
	v_pk_add_f16 v35, v37, v35
	v_sub_f16_e32 v37, v34, v130
	v_sub_f16_sdwa v148, v34, v130 dst_sel:DWORD dst_unused:UNUSED_PAD src0_sel:WORD_1 src1_sel:WORD_1
	v_sub_f16_e32 v149, v130, v34
	v_sub_f16_sdwa v34, v130, v34 dst_sel:DWORD dst_unused:UNUSED_PAD src0_sel:WORD_1 src1_sel:WORD_1
	v_add_f16_e32 v38, v95, v38
	v_fma_f16 v95, -0.5, v96, v97
	v_fmac_f16_e32 v97, -0.5, v98
	v_add_f16_e32 v33, v40, v33
	v_add_f16_e32 v34, v94, v34
	v_fmamk_f16 v94, v106, 0x3b9c, v105
	v_fmac_f16_e32 v105, 0xbb9c, v106
	v_add_f16_e32 v40, v118, v122
	v_fmamk_f16 v118, v107, 0xbb9c, v42
	v_fmac_f16_e32 v42, 0x3b9c, v107
	v_fmac_f16_e32 v94, 0xb8b4, v107
	;; [unrolled: 1-line block ×3, first 2 shown]
	v_fmamk_f16 v107, v108, 0xbb9c, v97
	v_fmac_f16_e32 v97, 0x3b9c, v108
	v_fma_f16 v117, -0.5, v117, v43
	v_lshrrev_b32_e32 v43, 16, v43
	v_add_f16_e32 v96, v99, v136
	v_add_f16_e32 v98, v101, v100
	v_fma_f16 v99, -0.5, v102, v134
	v_fmac_f16_e32 v134, -0.5, v103
	v_add_f16_e32 v100, v104, v121
	v_fmamk_f16 v121, v109, 0x3b9c, v95
	v_fmac_f16_e32 v95, 0xbb9c, v109
	v_fmac_f16_e32 v107, 0x38b4, v109
	;; [unrolled: 1-line block ×3, first 2 shown]
	v_fmamk_f16 v109, v111, 0x3b9c, v110
	v_fmac_f16_e32 v110, 0xbb9c, v111
	v_fma_f16 v102, -0.5, v126, v43
	v_fmac_f16_e32 v43, -0.5, v44
	v_add_f16_e32 v44, v139, v46
	v_fma_f16 v46, -0.5, v146, v135
	v_fmac_f16_e32 v135, -0.5, v141
	v_fmac_f16_e32 v118, 0xb8b4, v106
	v_fmac_f16_e32 v42, 0x38b4, v106
	v_fmamk_f16 v106, v123, 0x3b9c, v117
	v_fmac_f16_e32 v117, 0xbb9c, v123
	v_add_f16_e32 v103, v140, v124
	v_fmamk_f16 v122, v112, 0xbb9c, v120
	v_fmac_f16_e32 v120, 0x3b9c, v112
	v_fmac_f16_e32 v109, 0xb8b4, v112
	;; [unrolled: 1-line block ×3, first 2 shown]
	v_fmamk_f16 v112, v113, 0xbb9c, v134
	v_fmac_f16_e32 v134, 0x3b9c, v113
	v_fmamk_f16 v124, v114, 0x3b9c, v99
	v_fmac_f16_e32 v99, 0xbb9c, v114
	v_add_f16_e32 v41, v41, v47
	v_add_f16_e32 v47, v138, v125
	v_fmac_f16_e32 v121, 0x38b4, v108
	v_fmac_f16_e32 v95, 0xb8b4, v108
	v_fmamk_f16 v108, v116, 0xbb9c, v119
	v_fmac_f16_e32 v119, 0x3b9c, v116
	v_fmac_f16_e32 v106, 0xb8b4, v116
	v_fmac_f16_e32 v117, 0x38b4, v116
	v_fmamk_f16 v116, v143, 0xbb9c, v133
	v_fmamk_f16 v125, v131, 0xbb9c, v135
	v_fmac_f16_e32 v135, 0x3b9c, v131
	v_fmamk_f16 v126, v144, 0x3b9c, v46
	v_fmac_f16_e32 v46, 0xbb9c, v144
	v_fmac_f16_e32 v134, 0xb8b4, v114
	;; [unrolled: 1-line block ×5, first 2 shown]
	v_fmamk_f16 v114, v147, 0x3b9c, v132
	v_fmac_f16_e32 v132, 0xbb9c, v147
	v_fmac_f16_e32 v99, 0xb8b4, v113
	;; [unrolled: 1-line block ×3, first 2 shown]
	v_fmamk_f16 v111, v127, 0xbb9c, v43
	v_fmac_f16_e32 v43, 0x3b9c, v127
	v_add_f16_e32 v101, v115, v137
	v_add_f16_e32 v37, v93, v37
	;; [unrolled: 1-line block ×4, first 2 shown]
	v_fmac_f16_e32 v135, 0xb8b4, v144
	v_fmac_f16_e32 v125, 0x38b4, v144
	;; [unrolled: 1-line block ×16, first 2 shown]
	v_pk_add_f16 v123, v36, v130
	v_fmac_f16_e32 v99, 0x34f2, v41
	v_fmamk_f16 v113, v129, 0x3b9c, v102
	v_fmac_f16_e32 v135, 0x34f2, v93
	v_fmac_f16_e32 v125, 0x34f2, v93
	;; [unrolled: 1-line block ×16, first 2 shown]
	v_mul_f16_e32 v33, 0xbb9c, v134
	v_mul_f16_e32 v34, 0xb4f2, v134
	;; [unrolled: 1-line block ×6, first 2 shown]
	v_add_f16_e32 v104, v32, v128
	v_pk_add_f16 v32, v35, v39
	v_pk_add_f16 v35, v35, v39 neg_lo:[0,1] neg_hi:[0,1]
	v_fmac_f16_e32 v111, 0x34f2, v44
	v_fmac_f16_e32 v43, 0x34f2, v44
	v_pk_add_f16 v36, v45, v123
	v_pk_add_f16 v39, v45, v123 neg_lo:[0,1] neg_hi:[0,1]
	v_mul_f16_e32 v44, 0xb8b4, v99
	v_mul_f16_e32 v45, 0xba79, v99
	v_fmac_f16_e32 v113, 0x38b4, v127
	v_fmac_f16_e32 v107, 0x34f2, v96
	;; [unrolled: 1-line block ×5, first 2 shown]
	v_mul_f16_e32 v47, 0xbb9c, v135
	v_mul_f16_e32 v93, 0xb4f2, v135
	;; [unrolled: 1-line block ×6, first 2 shown]
	v_fmac_f16_e32 v102, 0xb8b4, v127
	v_fmac_f16_e32 v118, 0x34f2, v101
	;; [unrolled: 1-line block ×4, first 2 shown]
	v_mul_f16_e32 v101, 0xb8b4, v46
	v_mul_f16_e32 v46, 0xba79, v46
	v_fmac_f16_e32 v33, 0xb4f2, v110
	v_fmac_f16_e32 v34, 0x3b9c, v110
	;; [unrolled: 1-line block ×20, first 2 shown]
	v_add_f16_e32 v103, v105, v33
	v_add_f16_e32 v104, v97, v34
	v_add_f16_e32 v109, v94, v37
	v_add_f16_e32 v110, v107, v38
	v_add_f16_e32 v112, v118, v40
	v_add_f16_e32 v114, v121, v41
	v_sub_f16_e32 v37, v94, v37
	v_sub_f16_e32 v38, v107, v38
	;; [unrolled: 1-line block ×4, first 2 shown]
	v_add_f16_e32 v115, v42, v44
	v_add_f16_e32 v116, v95, v45
	v_sub_f16_e32 v105, v105, v33
	v_sub_f16_e32 v44, v42, v44
	;; [unrolled: 1-line block ×4, first 2 shown]
	v_add_f16_e32 v97, v117, v47
	v_add_f16_e32 v118, v43, v93
	v_add_f16_e32 v120, v106, v96
	v_add_f16_e32 v121, v111, v98
	v_sub_f16_e32 v96, v106, v96
	v_sub_f16_e32 v98, v111, v98
	;; [unrolled: 1-line block ×4, first 2 shown]
	v_add_f16_e32 v99, v108, v99
	v_add_f16_e32 v100, v113, v100
	;; [unrolled: 1-line block ×4, first 2 shown]
	v_sub_f16_e32 v117, v117, v47
	v_sub_f16_e32 v101, v119, v101
	;; [unrolled: 1-line block ×4, first 2 shown]
	v_pack_b32_f16 v41, v103, v104
	v_pack_b32_f16 v40, v109, v110
	;; [unrolled: 1-line block ×16, first 2 shown]
	ds_write2_b64 v74, v[32:33], v[40:41] offset1:1
	ds_write2_b64 v74, v[34:35], v[42:43] offset0:2 offset1:3
	ds_write_b64 v74, v[44:45] offset:32
	ds_write2_b64 v75, v[36:37], v[46:47] offset1:1
	ds_write2_b64 v75, v[38:39], v[93:94] offset0:2 offset1:3
	ds_write_b64 v75, v[95:96] offset:32
	s_waitcnt lgkmcnt(0)
	s_barrier
	buffer_gl0_inv
	ds_read2_b32 v[32:33], v54 offset0:96 offset1:112
	ds_read2_b32 v[34:35], v54 offset0:160 offset1:176
	ds_read2_b32 v[36:37], v73 offset1:16
	ds_read2_b32 v[38:39], v54 offset0:192 offset1:208
	ds_read2_b32 v[40:41], v54 offset0:128 offset1:144
	;; [unrolled: 1-line block ×5, first 2 shown]
	ds_read2_b32 v[74:75], v54 offset1:16
	ds_read2_b32 v[93:94], v54 offset0:32 offset1:48
	s_waitcnt lgkmcnt(0)
	s_barrier
	buffer_gl0_inv
	v_lshrrev_b32_e32 v95, 16, v32
	v_lshrrev_b32_e32 v97, 16, v35
	v_mul_f16_sdwa v98, v13, v35 dst_sel:DWORD dst_unused:UNUSED_PAD src0_sel:WORD_1 src1_sel:DWORD
	v_mul_f16_sdwa v96, v12, v32 dst_sel:DWORD dst_unused:UNUSED_PAD src0_sel:WORD_1 src1_sel:DWORD
	v_lshrrev_b32_e32 v99, 16, v36
	v_mul_f16_sdwa v100, v14, v36 dst_sel:DWORD dst_unused:UNUSED_PAD src0_sel:WORD_1 src1_sel:DWORD
	v_lshrrev_b32_e32 v101, 16, v33
	v_lshrrev_b32_e32 v103, 16, v37
	v_fma_f16 v98, v13, v97, -v98
	v_mul_f16_sdwa v97, v13, v97 dst_sel:DWORD dst_unused:UNUSED_PAD src0_sel:WORD_1 src1_sel:DWORD
	v_lshrrev_b32_e32 v105, 16, v38
	v_fma_f16 v96, v12, v95, -v96
	v_mul_f16_sdwa v95, v12, v95 dst_sel:DWORD dst_unused:UNUSED_PAD src0_sel:WORD_1 src1_sel:DWORD
	v_mul_f16_sdwa v121, v14, v99 dst_sel:DWORD dst_unused:UNUSED_PAD src0_sel:WORD_1 src1_sel:DWORD
	v_fma_f16 v99, v14, v99, -v100
	v_mul_f16_sdwa v100, v9, v101 dst_sel:DWORD dst_unused:UNUSED_PAD src0_sel:WORD_1 src1_sel:DWORD
	v_fmac_f16_e32 v97, v13, v35
	v_mul_f16_sdwa v13, v11, v103 dst_sel:DWORD dst_unused:UNUSED_PAD src0_sel:WORD_1 src1_sel:DWORD
	v_mul_f16_sdwa v102, v9, v33 dst_sel:DWORD dst_unused:UNUSED_PAD src0_sel:WORD_1 src1_sel:DWORD
	;; [unrolled: 1-line block ×3, first 2 shown]
	v_lshrrev_b32_e32 v107, 16, v39
	v_mul_f16_sdwa v108, v7, v39 dst_sel:DWORD dst_unused:UNUSED_PAD src0_sel:WORD_1 src1_sel:DWORD
	v_lshrrev_b32_e32 v111, 16, v42
	v_mul_f16_sdwa v112, v8, v42 dst_sel:DWORD dst_unused:UNUSED_PAD src0_sel:WORD_1 src1_sel:DWORD
	v_lshrrev_b32_e32 v113, 16, v41
	v_lshrrev_b32_e32 v114, 16, v43
	v_mul_f16_sdwa v115, v3, v41 dst_sel:DWORD dst_unused:UNUSED_PAD src0_sel:WORD_1 src1_sel:DWORD
	v_mul_f16_sdwa v116, v5, v43 dst_sel:DWORD dst_unused:UNUSED_PAD src0_sel:WORD_1 src1_sel:DWORD
	v_lshrrev_b32_e32 v119, 16, v34
	v_lshrrev_b32_e32 v120, 16, v45
	v_fmac_f16_e32 v95, v12, v32
	v_fmac_f16_e32 v100, v9, v33
	v_lshrrev_b32_e32 v32, 16, v47
	v_mul_f16_sdwa v33, v0, v47 dst_sel:DWORD dst_unused:UNUSED_PAD src0_sel:WORD_1 src1_sel:DWORD
	v_fmac_f16_e32 v13, v11, v37
	v_mul_f16_sdwa v37, v10, v105 dst_sel:DWORD dst_unused:UNUSED_PAD src0_sel:WORD_1 src1_sel:DWORD
	v_mul_f16_sdwa v106, v10, v38 dst_sel:DWORD dst_unused:UNUSED_PAD src0_sel:WORD_1 src1_sel:DWORD
	v_lshrrev_b32_e32 v109, 16, v40
	v_mul_f16_sdwa v110, v6, v40 dst_sel:DWORD dst_unused:UNUSED_PAD src0_sel:WORD_1 src1_sel:DWORD
	v_lshrrev_b32_e32 v117, 16, v44
	v_fmac_f16_e32 v121, v14, v36
	v_mul_f16_sdwa v12, v1, v34 dst_sel:DWORD dst_unused:UNUSED_PAD src0_sel:WORD_1 src1_sel:DWORD
	v_mul_f16_sdwa v14, v2, v45 dst_sel:DWORD dst_unused:UNUSED_PAD src0_sel:WORD_1 src1_sel:DWORD
	v_fma_f16 v11, v11, v103, -v104
	v_fmac_f16_e32 v37, v10, v38
	v_mul_f16_sdwa v38, v7, v107 dst_sel:DWORD dst_unused:UNUSED_PAD src0_sel:WORD_1 src1_sel:DWORD
	v_fma_f16 v104, v7, v107, -v108
	v_mul_f16_sdwa v107, v8, v111 dst_sel:DWORD dst_unused:UNUSED_PAD src0_sel:WORD_1 src1_sel:DWORD
	v_fma_f16 v108, v8, v111, -v112
	v_fma_f16 v111, v3, v113, -v115
	;; [unrolled: 1-line block ×3, first 2 shown]
	v_mul_f16_sdwa v115, v1, v119 dst_sel:DWORD dst_unused:UNUSED_PAD src0_sel:WORD_1 src1_sel:DWORD
	v_mul_f16_sdwa v116, v2, v120 dst_sel:DWORD dst_unused:UNUSED_PAD src0_sel:WORD_1 src1_sel:DWORD
	v_fma_f16 v33, v0, v32, -v33
	v_mul_f16_sdwa v32, v0, v32 dst_sel:DWORD dst_unused:UNUSED_PAD src0_sel:WORD_1 src1_sel:DWORD
	v_mul_f16_sdwa v118, v4, v44 dst_sel:DWORD dst_unused:UNUSED_PAD src0_sel:WORD_1 src1_sel:DWORD
	v_fma_f16 v9, v9, v101, -v102
	v_fma_f16 v102, v10, v105, -v106
	;; [unrolled: 1-line block ×3, first 2 shown]
	v_mul_f16_sdwa v106, v6, v109 dst_sel:DWORD dst_unused:UNUSED_PAD src0_sel:WORD_1 src1_sel:DWORD
	v_mul_f16_sdwa v109, v3, v113 dst_sel:DWORD dst_unused:UNUSED_PAD src0_sel:WORD_1 src1_sel:DWORD
	;; [unrolled: 1-line block ×4, first 2 shown]
	v_lshrrev_b32_e32 v35, 16, v74
	v_fma_f16 v12, v1, v119, -v12
	v_fma_f16 v14, v2, v120, -v14
	v_fmac_f16_e32 v115, v1, v34
	v_fmac_f16_e32 v116, v2, v45
	;; [unrolled: 1-line block ×3, first 2 shown]
	v_lshrrev_b32_e32 v36, 16, v75
	v_lshrrev_b32_e32 v101, 16, v93
	;; [unrolled: 1-line block ×4, first 2 shown]
	v_fma_f16 v114, v4, v117, -v118
	v_fmac_f16_e32 v38, v7, v39
	v_fmac_f16_e32 v106, v6, v40
	;; [unrolled: 1-line block ×6, first 2 shown]
	v_sub_f16_e32 v0, v33, v14
	v_sub_f16_e32 v1, v35, v12
	;; [unrolled: 1-line block ×20, first 2 shown]
	v_fma_f16 v33, v33, 2.0, -v0
	v_fma_f16 v35, v35, 2.0, -v1
	v_fma_f16 v74, v74, 2.0, -v12
	v_fma_f16 v32, v32, 2.0, -v39
	v_fma_f16 v41, v96, 2.0, -v2
	v_fma_f16 v36, v36, 2.0, -v3
	v_fma_f16 v75, v75, 2.0, -v14
	v_add_f16_e32 v0, v12, v0
	v_sub_f16_e32 v39, v1, v39
	v_fma_f16 v95, v95, 2.0, -v40
	v_fma_f16 v9, v9, 2.0, -v4
	;; [unrolled: 1-line block ×4, first 2 shown]
	v_add_f16_e32 v2, v14, v2
	v_sub_f16_e32 v40, v3, v40
	v_fma_f16 v97, v100, 2.0, -v13
	v_sub_f16_e32 v13, v5, v13
	v_add_f16_e32 v4, v34, v4
	v_fma_f16 v44, v105, 2.0, -v6
	v_fma_f16 v45, v103, 2.0, -v7
	;; [unrolled: 1-line block ×7, first 2 shown]
	v_add_f16_e32 v6, v37, v6
	v_sub_f16_e32 v43, v7, v43
	v_fma_f16 v99, v109, 2.0, -v47
	v_add_f16_e32 v8, v38, v8
	v_sub_f16_e32 v47, v11, v47
	v_sub_f16_e32 v33, v35, v33
	;; [unrolled: 1-line block ×4, first 2 shown]
	v_fma_f16 v12, v12, 2.0, -v0
	v_pack_b32_f16 v0, v0, v39
	v_fma_f16 v1, v1, 2.0, -v39
	v_sub_f16_e32 v39, v75, v95
	v_sub_f16_e32 v9, v42, v9
	v_fma_f16 v14, v14, 2.0, -v2
	v_fma_f16 v3, v3, 2.0, -v40
	v_pack_b32_f16 v2, v2, v40
	v_fma_f16 v5, v5, 2.0, -v13
	v_fma_f16 v34, v34, 2.0, -v4
	v_sub_f16_e32 v40, v93, v97
	v_sub_f16_e32 v44, v45, v44
	;; [unrolled: 1-line block ×3, first 2 shown]
	v_pack_b32_f16 v4, v4, v13
	v_fma_f16 v13, v37, 2.0, -v6
	v_fma_f16 v7, v7, 2.0, -v43
	v_sub_f16_e32 v37, v94, v98
	v_pack_b32_f16 v6, v6, v43
	v_fma_f16 v38, v38, 2.0, -v8
	v_fma_f16 v11, v11, 2.0, -v47
	v_sub_f16_e32 v43, v46, v99
	v_fma_f16 v35, v35, 2.0, -v33
	v_pack_b32_f16 v33, v32, v33
	v_fma_f16 v32, v74, 2.0, -v32
	v_fma_f16 v36, v36, 2.0, -v41
	v_pack_b32_f16 v1, v12, v1
	v_fma_f16 v12, v75, 2.0, -v39
	v_fma_f16 v42, v42, 2.0, -v9
	v_pack_b32_f16 v5, v34, v5
	v_fma_f16 v34, v93, 2.0, -v40
	v_fma_f16 v45, v45, 2.0, -v44
	v_fma_f16 v10, v10, 2.0, -v96
	v_pack_b32_f16 v7, v13, v7
	v_fma_f16 v13, v94, 2.0, -v37
	v_pack_b32_f16 v11, v38, v11
	v_fma_f16 v38, v46, 2.0, -v43
	ds_write2_b32 v76, v33, v0 offset0:20 offset1:30
	v_pack_b32_f16 v0, v32, v35
	v_pack_b32_f16 v3, v14, v3
	;; [unrolled: 1-line block ×11, first 2 shown]
	ds_write2_b32 v76, v0, v1 offset1:10
	ds_write2_b32 v79, v12, v3 offset1:10
	ds_write2_b32 v79, v14, v2 offset0:20 offset1:30
	ds_write2_b32 v80, v32, v5 offset1:10
	ds_write2_b32 v80, v9, v4 offset0:20 offset1:30
	;; [unrolled: 2-line block ×4, first 2 shown]
	s_waitcnt lgkmcnt(0)
	s_barrier
	buffer_gl0_inv
	ds_read2_b32 v[0:1], v54 offset0:96 offset1:112
	ds_read2_b32 v[2:3], v54 offset0:160 offset1:176
	ds_read2_b32 v[4:5], v73 offset1:16
	ds_read2_b32 v[6:7], v54 offset0:192 offset1:208
	ds_read2_b32 v[8:9], v54 offset0:128 offset1:144
	;; [unrolled: 1-line block ×5, first 2 shown]
	ds_read2_b32 v[34:35], v54 offset1:16
	ds_read2_b32 v[36:37], v54 offset0:32 offset1:48
	s_waitcnt lgkmcnt(0)
	s_barrier
	buffer_gl0_inv
	v_lshrrev_b32_e32 v14, 16, v0
	v_mul_f16_sdwa v38, v18, v0 dst_sel:DWORD dst_unused:UNUSED_PAD src0_sel:WORD_1 src1_sel:DWORD
	v_lshrrev_b32_e32 v39, 16, v3
	v_mul_f16_sdwa v40, v19, v3 dst_sel:DWORD dst_unused:UNUSED_PAD src0_sel:WORD_1 src1_sel:DWORD
	;; [unrolled: 2-line block ×15, first 2 shown]
	v_fma_f16 v38, v18, v14, -v38
	v_mul_f16_sdwa v14, v18, v14 dst_sel:DWORD dst_unused:UNUSED_PAD src0_sel:WORD_1 src1_sel:DWORD
	v_fma_f16 v40, v19, v39, -v40
	v_mul_f16_sdwa v39, v19, v39 dst_sel:DWORD dst_unused:UNUSED_PAD src0_sel:WORD_1 src1_sel:DWORD
	v_mul_f16_sdwa v110, v20, v41 dst_sel:DWORD dst_unused:UNUSED_PAD src0_sel:WORD_1 src1_sel:DWORD
	v_fma_f16 v41, v20, v41, -v42
	v_mul_f16_sdwa v42, v27, v43 dst_sel:DWORD dst_unused:UNUSED_PAD src0_sel:WORD_1 src1_sel:DWORD
	;; [unrolled: 3-line block ×3, first 2 shown]
	v_fma_f16 v45, v29, v45, -v46
	v_fma_f16 v46, v28, v47, -v74
	v_mul_f16_sdwa v47, v25, v75 dst_sel:DWORD dst_unused:UNUSED_PAD src0_sel:WORD_1 src1_sel:DWORD
	v_fma_f16 v74, v25, v75, -v76
	v_fma_f16 v75, v24, v77, -v78
	v_mul_f16_sdwa v76, v24, v77 dst_sel:DWORD dst_unused:UNUSED_PAD src0_sel:WORD_1 src1_sel:DWORD
	v_fma_f16 v77, v26, v79, -v80
	v_mul_f16_sdwa v78, v26, v79 dst_sel:DWORD dst_unused:UNUSED_PAD src0_sel:WORD_1 src1_sel:DWORD
	v_mul_f16_sdwa v79, v21, v93 dst_sel:DWORD dst_unused:UNUSED_PAD src0_sel:WORD_1 src1_sel:DWORD
	v_fma_f16 v80, v21, v93, -v94
	v_mul_f16_sdwa v93, v23, v95 dst_sel:DWORD dst_unused:UNUSED_PAD src0_sel:WORD_1 src1_sel:DWORD
	v_fma_f16 v94, v23, v95, -v96
	v_fma_f16 v95, v22, v97, -v98
	v_mul_f16_sdwa v96, v22, v97 dst_sel:DWORD dst_unused:UNUSED_PAD src0_sel:WORD_1 src1_sel:DWORD
	v_mul_f16_sdwa v97, v16, v99 dst_sel:DWORD dst_unused:UNUSED_PAD src0_sel:WORD_1 src1_sel:DWORD
	v_fma_f16 v98, v16, v99, -v100
	v_mul_f16_sdwa v99, v17, v101 dst_sel:DWORD dst_unused:UNUSED_PAD src0_sel:WORD_1 src1_sel:DWORD
	v_fma_f16 v100, v17, v101, -v102
	v_mul_f16_sdwa v102, v15, v103 dst_sel:DWORD dst_unused:UNUSED_PAD src0_sel:WORD_1 src1_sel:DWORD
	v_lshrrev_b32_e32 v106, 16, v35
	v_lshrrev_b32_e32 v107, 16, v36
	;; [unrolled: 1-line block ×4, first 2 shown]
	v_fma_f16 v101, v15, v103, -v104
	v_fmac_f16_e32 v14, v18, v0
	v_fmac_f16_e32 v39, v19, v3
	v_fmac_f16_e32 v110, v20, v4
	v_fmac_f16_e32 v97, v16, v2
	v_fmac_f16_e32 v99, v17, v13
	v_fmac_f16_e32 v102, v15, v33
	v_lshrrev_b32_e32 v109, 16, v32
	v_fmac_f16_e32 v42, v27, v1
	v_fmac_f16_e32 v111, v29, v5
	;; [unrolled: 1-line block ×9, first 2 shown]
	v_sub_f16_e32 v2, v38, v41
	v_sub_f16_e32 v3, v106, v40
	;; [unrolled: 1-line block ×17, first 2 shown]
	v_fma_f16 v20, v38, 2.0, -v2
	v_fma_f16 v21, v106, 2.0, -v3
	v_sub_f16_e32 v22, v42, v111
	v_fma_f16 v23, v43, 2.0, -v4
	v_fma_f16 v24, v107, 2.0, -v5
	v_sub_f16_e32 v25, v76, v78
	;; [unrolled: 3-line block ×3, first 2 shown]
	v_fma_f16 v17, v101, 2.0, -v0
	v_fma_f16 v18, v105, 2.0, -v1
	;; [unrolled: 1-line block ×5, first 2 shown]
	v_add_f16_e32 v0, v10, v0
	v_sub_f16_e32 v16, v1, v16
	v_fma_f16 v14, v14, 2.0, -v19
	v_add_f16_e32 v2, v11, v2
	v_sub_f16_e32 v19, v3, v19
	v_fma_f16 v29, v80, 2.0, -v8
	v_fma_f16 v33, v109, 2.0, -v9
	;; [unrolled: 1-line block ×6, first 2 shown]
	v_add_f16_e32 v4, v12, v4
	v_sub_f16_e32 v22, v5, v22
	v_fma_f16 v40, v76, 2.0, -v25
	v_add_f16_e32 v6, v13, v6
	v_sub_f16_e32 v25, v7, v25
	v_fma_f16 v41, v79, 2.0, -v28
	v_add_f16_e32 v8, v15, v8
	v_sub_f16_e32 v28, v9, v28
	v_sub_f16_e32 v20, v21, v20
	;; [unrolled: 1-line block ×5, first 2 shown]
	v_fma_f16 v10, v10, 2.0, -v0
	v_fma_f16 v1, v1, 2.0, -v16
	v_pack_b32_f16 v0, v0, v16
	v_fma_f16 v11, v11, 2.0, -v2
	v_fma_f16 v3, v3, 2.0, -v19
	v_sub_f16_e32 v16, v34, v38
	v_sub_f16_e32 v14, v35, v14
	;; [unrolled: 1-line block ×3, first 2 shown]
	v_pack_b32_f16 v2, v2, v19
	v_fma_f16 v12, v12, 2.0, -v4
	v_fma_f16 v5, v5, 2.0, -v22
	v_pack_b32_f16 v4, v4, v22
	v_fma_f16 v13, v13, 2.0, -v6
	v_fma_f16 v7, v7, 2.0, -v25
	;; [unrolled: 3-line block ×3, first 2 shown]
	v_fma_f16 v19, v21, 2.0, -v20
	v_sub_f16_e32 v21, v36, v39
	v_fma_f16 v22, v24, 2.0, -v23
	v_sub_f16_e32 v24, v37, v40
	;; [unrolled: 2-line block ×3, first 2 shown]
	v_fma_f16 v18, v18, 2.0, -v17
	v_pack_b32_f16 v1, v10, v1
	v_fma_f16 v10, v34, 2.0, -v16
	ds_write_b32 v54, v0 offset:480
	v_pack_b32_f16 v0, v11, v3
	v_fma_f16 v3, v35, 2.0, -v14
	v_pack_b32_f16 v8, v8, v28
	v_fma_f16 v28, v33, 2.0, -v29
	;; [unrolled: 2-line block ×5, first 2 shown]
	v_pack_b32_f16 v16, v16, v17
	v_pack_b32_f16 v10, v10, v18
	ds_write_b32 v54, v1 offset:160
	v_pack_b32_f16 v1, v3, v19
	v_pack_b32_f16 v11, v14, v20
	;; [unrolled: 1-line block ×8, first 2 shown]
	ds_write_b32 v54, v16 offset:320
	ds_write2_b32 v54, v10, v1 offset1:16
	ds_write_b32 v54, v0 offset:224
	ds_write_b32 v54, v11 offset:384
	;; [unrolled: 1-line block ×3, first 2 shown]
	ds_write2_b32 v82, v3, v5 offset1:40
	ds_write2_b32 v82, v14, v4 offset0:80 offset1:120
	ds_write2_b32 v54, v12, v13 offset0:168 offset1:184
	;; [unrolled: 1-line block ×5, first 2 shown]
	s_waitcnt lgkmcnt(0)
	s_barrier
	buffer_gl0_inv
	ds_read2_b32 v[0:1], v54 offset0:160 offset1:176
	ds_read2_b32 v[2:3], v54 offset0:192 offset1:208
	;; [unrolled: 1-line block ×3, first 2 shown]
	ds_read2_b32 v[6:7], v73 offset1:16
	ds_read2_b32 v[8:9], v54 offset1:16
	ds_read2_b32 v[10:11], v54 offset0:32 offset1:48
	ds_read2_b32 v[12:13], v73 offset0:32 offset1:48
	ds_read2_b32 v[14:15], v54 offset0:64 offset1:80
	ds_read2_b32 v[16:17], v54 offset0:96 offset1:112
	ds_read2_b32 v[18:19], v54 offset0:128 offset1:144
	s_waitcnt lgkmcnt(9)
	v_lshrrev_b32_e32 v20, 16, v0
	v_lshrrev_b32_e32 v21, 16, v1
	v_mul_f16_sdwa v22, v83, v0 dst_sel:DWORD dst_unused:UNUSED_PAD src0_sel:WORD_1 src1_sel:DWORD
	s_waitcnt lgkmcnt(8)
	v_lshrrev_b32_e32 v23, 16, v2
	v_mul_f16_sdwa v24, v84, v1 dst_sel:DWORD dst_unused:UNUSED_PAD src0_sel:WORD_1 src1_sel:DWORD
	v_lshrrev_b32_e32 v25, 16, v3
	s_waitcnt lgkmcnt(7)
	v_lshrrev_b32_e32 v26, 16, v4
	v_mul_f16_sdwa v27, v85, v2 dst_sel:DWORD dst_unused:UNUSED_PAD src0_sel:WORD_1 src1_sel:DWORD
	v_lshrrev_b32_e32 v28, 16, v5
	v_mul_f16_sdwa v29, v86, v3 dst_sel:DWORD dst_unused:UNUSED_PAD src0_sel:WORD_1 src1_sel:DWORD
	s_waitcnt lgkmcnt(6)
	v_lshrrev_b32_e32 v32, 16, v6
	v_mul_f16_sdwa v33, v87, v4 dst_sel:DWORD dst_unused:UNUSED_PAD src0_sel:WORD_1 src1_sel:DWORD
	v_mul_f16_sdwa v34, v88, v5 dst_sel:DWORD dst_unused:UNUSED_PAD src0_sel:WORD_1 src1_sel:DWORD
	v_lshrrev_b32_e32 v35, 16, v7
	v_mul_f16_sdwa v36, v89, v6 dst_sel:DWORD dst_unused:UNUSED_PAD src0_sel:WORD_1 src1_sel:DWORD
	v_mul_f16_sdwa v37, v90, v7 dst_sel:DWORD dst_unused:UNUSED_PAD src0_sel:WORD_1 src1_sel:DWORD
	s_waitcnt lgkmcnt(3)
	v_lshrrev_b32_e32 v38, 16, v12
	v_lshrrev_b32_e32 v39, 16, v13
	v_mul_f16_sdwa v77, v83, v20 dst_sel:DWORD dst_unused:UNUSED_PAD src0_sel:WORD_1 src1_sel:DWORD
	v_fma_f16 v20, v83, v20, -v22
	v_mul_f16_sdwa v22, v84, v21 dst_sel:DWORD dst_unused:UNUSED_PAD src0_sel:WORD_1 src1_sel:DWORD
	v_fma_f16 v21, v84, v21, -v24
	v_mul_f16_sdwa v24, v85, v23 dst_sel:DWORD dst_unused:UNUSED_PAD src0_sel:WORD_1 src1_sel:DWORD
	v_mul_f16_sdwa v78, v86, v25 dst_sel:DWORD dst_unused:UNUSED_PAD src0_sel:WORD_1 src1_sel:DWORD
	;; [unrolled: 1-line block ×4, first 2 shown]
	v_lshrrev_b32_e32 v42, 16, v8
	v_lshrrev_b32_e32 v43, 16, v9
	v_fma_f16 v23, v85, v23, -v27
	v_fma_f16 v25, v86, v25, -v29
	v_mul_f16_sdwa v27, v87, v26 dst_sel:DWORD dst_unused:UNUSED_PAD src0_sel:WORD_1 src1_sel:DWORD
	v_fma_f16 v26, v87, v26, -v33
	v_mul_f16_sdwa v29, v88, v28 dst_sel:DWORD dst_unused:UNUSED_PAD src0_sel:WORD_1 src1_sel:DWORD
	;; [unrolled: 2-line block ×3, first 2 shown]
	v_mul_f16_sdwa v34, v90, v35 dst_sel:DWORD dst_unused:UNUSED_PAD src0_sel:WORD_1 src1_sel:DWORD
	v_fma_f16 v32, v89, v32, -v36
	v_fma_f16 v35, v90, v35, -v37
	v_mul_f16_sdwa v36, v91, v38 dst_sel:DWORD dst_unused:UNUSED_PAD src0_sel:WORD_1 src1_sel:DWORD
	v_mul_f16_sdwa v37, v92, v39 dst_sel:DWORD dst_unused:UNUSED_PAD src0_sel:WORD_1 src1_sel:DWORD
	v_fmac_f16_e32 v77, v83, v0
	v_fmac_f16_e32 v22, v84, v1
	v_lshrrev_b32_e32 v44, 16, v10
	v_fmac_f16_e32 v24, v85, v2
	v_lshrrev_b32_e32 v45, 16, v11
	v_fmac_f16_e32 v78, v86, v3
	s_waitcnt lgkmcnt(2)
	v_lshrrev_b32_e32 v46, 16, v14
	v_lshrrev_b32_e32 v47, 16, v15
	s_waitcnt lgkmcnt(1)
	v_lshrrev_b32_e32 v73, 16, v16
	v_lshrrev_b32_e32 v74, 16, v17
	;; [unrolled: 3-line block ×3, first 2 shown]
	v_fma_f16 v38, v91, v38, -v40
	v_fma_f16 v39, v92, v39, -v41
	v_fmac_f16_e32 v27, v87, v4
	v_fmac_f16_e32 v29, v88, v5
	;; [unrolled: 1-line block ×6, first 2 shown]
	v_sub_f16_e32 v0, v42, v20
	v_sub_f16_e32 v1, v43, v21
	;; [unrolled: 1-line block ×20, first 2 shown]
	v_fma_f16 v32, v42, 2.0, -v0
	v_fma_f16 v33, v43, 2.0, -v1
	;; [unrolled: 1-line block ×4, first 2 shown]
	v_pack_b32_f16 v0, v20, v0
	v_fma_f16 v34, v44, 2.0, -v2
	v_fma_f16 v10, v10, 2.0, -v22
	;; [unrolled: 1-line block ×16, first 2 shown]
	v_pack_b32_f16 v8, v8, v32
	ds_write_b32 v54, v0 offset:640
	v_pack_b32_f16 v0, v9, v33
	v_pack_b32_f16 v1, v21, v1
	;; [unrolled: 1-line block ×18, first 2 shown]
	ds_write2_b32 v54, v8, v0 offset1:16
	ds_write_b32 v54, v1 offset:704
	ds_write_b32 v54, v9 offset:128
	;; [unrolled: 1-line block ×7, first 2 shown]
	ds_write2_b32 v53, v4, v5 offset0:224 offset1:240
	ds_write_b32 v54, v15 offset:384
	ds_write_b32 v53, v16 offset:448
	ds_write2_b32 v62, v6, v7 offset1:16
	ds_write_b32 v54, v17 offset:512
	ds_write_b32 v53, v18 offset:576
	ds_write2_b32 v62, v12, v13 offset0:32 offset1:48
	s_waitcnt lgkmcnt(0)
	s_barrier
	buffer_gl0_inv
	ds_read2_b32 v[3:4], v54 offset1:16
	ds_read2_b32 v[0:1], v54 offset0:32 offset1:48
	ds_read2_b32 v[9:10], v54 offset0:64 offset1:96
	v_mad_u64_u32 v[7:8], null, s12, v71, 0
	ds_read2_b32 v[5:6], v54 offset0:128 offset1:160
	v_lshlrev_b64 v[24:25], 2, v[30:31]
	v_mov_b32_e32 v2, v8
	s_waitcnt lgkmcnt(3)
	v_mad_u64_u32 v[11:12], null, s13, v71, v[2:3]
	v_lshrrev_b32_e32 v2, 16, v3
	v_mul_f16_sdwa v8, v67, v3 dst_sel:DWORD dst_unused:UNUSED_PAD src0_sel:WORD_1 src1_sel:DWORD
	s_waitcnt lgkmcnt(2)
	v_lshrrev_b32_e32 v12, 16, v0
	v_mul_f16_sdwa v13, v68, v0 dst_sel:DWORD dst_unused:UNUSED_PAD src0_sel:WORD_1 src1_sel:DWORD
	s_waitcnt lgkmcnt(1)
	v_lshrrev_b32_e32 v14, 16, v9
	v_mul_f16_sdwa v15, v69, v9 dst_sel:DWORD dst_unused:UNUSED_PAD src0_sel:WORD_1 src1_sel:DWORD
	v_fma_f16 v8, v67, v2, -v8
	v_mul_f16_sdwa v18, v67, v2 dst_sel:DWORD dst_unused:UNUSED_PAD src0_sel:WORD_1 src1_sel:DWORD
	v_fma_f16 v2, v68, v12, -v13
	v_lshrrev_b32_e32 v16, 16, v10
	v_mul_f16_sdwa v17, v70, v10 dst_sel:DWORD dst_unused:UNUSED_PAD src0_sel:WORD_1 src1_sel:DWORD
	v_fma_f16 v15, v69, v14, -v15
	v_cvt_f32_f16_e32 v8, v8
	v_cvt_f32_f16_e32 v2, v2
	v_mul_f16_sdwa v19, v68, v12 dst_sel:DWORD dst_unused:UNUSED_PAD src0_sel:WORD_1 src1_sel:DWORD
	v_mul_f16_sdwa v20, v69, v14 dst_sel:DWORD dst_unused:UNUSED_PAD src0_sel:WORD_1 src1_sel:DWORD
	v_fma_f16 v14, v70, v16, -v17
	v_cvt_f64_f32_e32 v[12:13], v8
	v_cvt_f32_f16_e32 v8, v15
	v_fmac_f16_e32 v18, v67, v3
	v_cvt_f64_f32_e32 v[2:3], v2
	v_mul_f16_sdwa v21, v70, v16 dst_sel:DWORD dst_unused:UNUSED_PAD src0_sel:WORD_1 src1_sel:DWORD
	v_cvt_f32_f16_e32 v16, v14
	v_cvt_f64_f32_e32 v[14:15], v8
	v_fmac_f16_e32 v19, v68, v0
	v_cvt_f32_f16_e32 v0, v18
	v_fmac_f16_e32 v20, v69, v9
	v_fmac_f16_e32 v21, v70, v10
	v_cvt_f64_f32_e32 v[9:10], v16
	v_cvt_f32_f16_e32 v18, v19
	v_cvt_f64_f32_e32 v[16:17], v0
	s_waitcnt lgkmcnt(0)
	v_lshrrev_b32_e32 v0, 16, v5
	v_cvt_f32_f16_e32 v20, v20
	v_mov_b32_e32 v8, v11
	v_cvt_f64_f32_e32 v[18:19], v18
	v_cvt_f32_f16_e32 v22, v21
	v_mul_f16_sdwa v28, v66, v0 dst_sel:DWORD dst_unused:UNUSED_PAD src0_sel:WORD_1 src1_sel:DWORD
	v_cvt_f64_f32_e32 v[20:21], v20
	v_lshlrev_b64 v[7:8], 2, v[7:8]
	v_mul_f64 v[11:12], v[12:13], s[14:15]
	v_cvt_f64_f32_e32 v[22:23], v22
	v_fmac_f16_e32 v28, v66, v5
	v_mul_f64 v[26:27], v[2:3], s[14:15]
	v_mul_f16_sdwa v5, v66, v5 dst_sel:DWORD dst_unused:UNUSED_PAD src0_sel:WORD_1 src1_sel:DWORD
	v_mul_f64 v[13:14], v[14:15], s[14:15]
	v_add_co_u32 v15, vcc_lo, s0, v24
	v_add_co_ci_u32_e32 v24, vcc_lo, s1, v25, vcc_lo
	v_mul_f64 v[2:3], v[9:10], s[14:15]
	v_cvt_f32_f16_e32 v25, v28
	v_mul_f64 v[9:10], v[16:17], s[14:15]
	v_add_co_u32 v7, vcc_lo, v15, v7
	v_add_co_ci_u32_e32 v8, vcc_lo, v24, v8, vcc_lo
	v_mul_f64 v[15:16], v[18:19], s[14:15]
	v_cvt_f64_f32_e32 v[17:18], v25
	v_mul_f64 v[19:20], v[20:21], s[14:15]
	v_fma_f16 v0, v66, v0, -v5
	v_and_or_b32 v11, 0x1ff, v12, v11
	v_mul_f64 v[21:22], v[22:23], s[14:15]
	v_lshrrev_b32_e32 v23, 8, v12
	v_and_or_b32 v25, 0x1ff, v27, v26
	v_bfe_u32 v24, v12, 20, 11
	v_lshrrev_b32_e32 v26, 8, v27
	v_and_or_b32 v13, 0x1ff, v14, v13
	v_bfe_u32 v28, v27, 20, 11
	v_cmp_ne_u32_e32 vcc_lo, 0, v25
	v_lshrrev_b32_e32 v29, 8, v14
	v_sub_nc_u32_e32 v41, 0x3f1, v24
	v_and_or_b32 v2, 0x1ff, v3, v2
	v_add_nc_u32_e32 v24, 0xfffffc10, v24
	v_cndmask_b32_e64 v25, 0, 1, vcc_lo
	v_cmp_ne_u32_e32 vcc_lo, 0, v13
	v_and_or_b32 v9, 0x1ff, v10, v9
	v_bfe_u32 v30, v14, 20, 11
	v_lshrrev_b32_e32 v33, 8, v10
	v_and_or_b32 v15, 0x1ff, v16, v15
	v_cndmask_b32_e64 v13, 0, 1, vcc_lo
	v_cmp_ne_u32_e32 vcc_lo, 0, v11
	v_and_or_b32 v19, 0x1ff, v20, v19
	v_lshrrev_b32_e32 v35, 8, v16
	v_and_or_b32 v21, 0x1ff, v22, v21
	v_bfe_u32 v36, v16, 20, 11
	v_cndmask_b32_e64 v11, 0, 1, vcc_lo
	v_cmp_ne_u32_e32 vcc_lo, 0, v2
	v_lshrrev_b32_e32 v39, 8, v20
	v_and_or_b32 v25, 0xffe, v26, v25
	v_sub_nc_u32_e32 v37, 0x3f1, v28
	v_and_or_b32 v11, 0xffe, v23, v11
	v_cndmask_b32_e64 v2, 0, 1, vcc_lo
	v_cmp_ne_u32_e32 vcc_lo, 0, v9
	v_bfe_u32 v40, v20, 20, 11
	v_add_nc_u32_e32 v28, 0xfffffc10, v28
	v_lshrrev_b32_e32 v42, 8, v22
	v_sub_nc_u32_e32 v45, 0x3f1, v36
	v_cndmask_b32_e64 v9, 0, 1, vcc_lo
	v_cmp_ne_u32_e32 vcc_lo, 0, v15
	v_and_or_b32 v13, 0xffe, v29, v13
	v_bfe_u32 v34, v10, 20, 11
	v_sub_nc_u32_e32 v38, 0x3f1, v30
	v_add_nc_u32_e32 v30, 0xfffffc10, v30
	v_cndmask_b32_e64 v15, 0, 1, vcc_lo
	v_cmp_ne_u32_e32 vcc_lo, 0, v19
	v_sub_nc_u32_e32 v46, 0x3f1, v40
	v_med3_i32 v26, v45, 0, 13
	v_or_b32_e32 v45, 0x1000, v25
	v_and_or_b32 v15, 0xffe, v35, v15
	v_cndmask_b32_e64 v19, 0, 1, vcc_lo
	v_cmp_ne_u32_e32 vcc_lo, 0, v21
	v_or_b32_e32 v35, 0x1000, v11
	v_and_or_b32 v9, 0xffe, v33, v9
	v_bfe_u32 v43, v22, 20, 11
	v_and_or_b32 v19, 0xffe, v39, v19
	v_cndmask_b32_e64 v21, 0, 1, vcc_lo
	v_cmp_ne_u32_e32 vcc_lo, 0, v11
	v_lshl_or_b32 v39, v24, 12, v11
	v_sub_nc_u32_e32 v44, 0x3f1, v34
	v_med3_i32 v41, v41, 0, 13
	v_and_or_b32 v21, 0xffe, v42, v21
	v_cndmask_b32_e64 v11, 0, 1, vcc_lo
	v_cmp_ne_u32_e32 vcc_lo, 0, v25
	v_lshl_or_b32 v42, v28, 12, v25
	v_add_nc_u32_e32 v34, 0xfffffc10, v34
	v_med3_i32 v29, v46, 0, 13
	v_or_b32_e32 v33, 0x1000, v13
	v_cndmask_b32_e64 v25, 0, 1, vcc_lo
	v_cmp_ne_u32_e32 vcc_lo, 0, v13
	v_lshl_or_b32 v46, v30, 12, v13
	v_med3_i32 v37, v37, 0, 13
	v_add_nc_u32_e32 v36, 0xfffffc10, v36
	v_sub_nc_u32_e32 v47, 0x3f1, v43
	v_cndmask_b32_e64 v13, 0, 1, vcc_lo
	v_cmp_ne_u32_e32 vcc_lo, 0, v9
	v_or_b32_e32 v67, 0x1000, v9
	v_lshrrev_b32_e32 v71, v41, v35
	v_lshl_or_b32 v73, v34, 12, v9
	v_med3_i32 v38, v38, 0, 13
	v_cndmask_b32_e64 v9, 0, 1, vcc_lo
	v_cmp_ne_u32_e32 vcc_lo, 0, v15
	v_add_nc_u32_e32 v40, 0xfffffc10, v40
	v_med3_i32 v23, v44, 0, 13
	v_med3_i32 v44, v47, 0, 13
	v_lshrrev_b32_e32 v47, v37, v45
	v_or_b32_e32 v69, 0x1000, v15
	v_lshl_or_b32 v74, v36, 12, v15
	v_cndmask_b32_e64 v15, 0, 1, vcc_lo
	v_cmp_ne_u32_e32 vcc_lo, 0, v19
	v_lshlrev_b32_e32 v41, v41, v71
	v_lshrrev_b32_e32 v68, v38, v33
	v_or_b32_e32 v70, 0x1000, v19
	v_lshl_or_b32 v75, v40, 12, v19
	v_cndmask_b32_e64 v19, 0, 1, vcc_lo
	v_lshlrev_b32_e32 v37, v37, v47
	v_cmp_ne_u32_e32 vcc_lo, v41, v35
	v_lshrrev_b32_e32 v77, v23, v67
	v_lshlrev_b32_e32 v38, v38, v68
	v_lshrrev_b32_e32 v78, v26, v69
	v_lshrrev_b32_e32 v79, v29, v70
	v_cndmask_b32_e64 v35, 0, 1, vcc_lo
	v_cmp_ne_u32_e32 vcc_lo, v37, v45
	v_lshlrev_b32_e32 v23, v23, v77
	v_lshlrev_b32_e32 v26, v26, v78
	;; [unrolled: 1-line block ×3, first 2 shown]
	v_or_b32_e32 v35, v71, v35
	v_cndmask_b32_e64 v37, 0, 1, vcc_lo
	v_cmp_ne_u32_e32 vcc_lo, v38, v33
	v_lshl_or_b32 v9, v9, 9, 0x7c00
	v_lshl_or_b32 v11, v11, 9, 0x7c00
	v_lshl_or_b32 v15, v15, 9, 0x7c00
	v_or_b32_e32 v37, v47, v37
	v_cndmask_b32_e64 v33, 0, 1, vcc_lo
	v_cmp_ne_u32_e32 vcc_lo, v23, v67
	v_lshrrev_b32_e32 v10, 16, v10
	v_lshl_or_b32 v25, v25, 9, 0x7c00
	v_or_b32_e32 v76, 0x1000, v21
	v_or_b32_e32 v33, v68, v33
	v_cndmask_b32_e64 v23, 0, 1, vcc_lo
	v_cmp_ne_u32_e32 vcc_lo, v26, v69
	v_lshl_or_b32 v13, v13, 9, 0x7c00
	v_lshrrev_b32_e32 v80, v44, v76
	v_lshrrev_b32_e32 v12, 16, v12
	v_or_b32_e32 v23, v77, v23
	v_cndmask_b32_e64 v26, 0, 1, vcc_lo
	v_cmp_ne_u32_e32 vcc_lo, v29, v70
	v_lshrrev_b32_e32 v31, 8, v3
	v_bfe_u32 v32, v3, 20, 11
	v_lshrrev_b32_e32 v16, 16, v16
	v_or_b32_e32 v26, v78, v26
	v_cndmask_b32_e64 v29, 0, 1, vcc_lo
	v_cmp_gt_i32_e32 vcc_lo, 1, v24
	v_lshl_or_b32 v19, v19, 9, 0x7c00
	v_lshlrev_b32_e32 v44, v44, v80
	v_lshrrev_b32_e32 v27, 16, v27
	v_or_b32_e32 v29, v79, v29
	v_cndmask_b32_e32 v35, v39, v35, vcc_lo
	v_cmp_gt_i32_e32 vcc_lo, 1, v28
	v_lshrrev_b32_e32 v14, 16, v14
	v_lshrrev_b32_e32 v20, 16, v20
	v_and_or_b32 v2, 0xffe, v31, v2
	v_and_b32_e32 v38, 7, v35
	v_cndmask_b32_e32 v37, v42, v37, vcc_lo
	v_cmp_gt_i32_e32 vcc_lo, 1, v30
	v_lshrrev_b32_e32 v35, 2, v35
	v_cvt_f32_f16_e32 v0, v0
	v_cmp_eq_u32_e64 s0, 3, v38
	v_and_b32_e32 v39, 7, v37
	v_cndmask_b32_e32 v33, v46, v33, vcc_lo
	v_cmp_gt_i32_e32 vcc_lo, 1, v34
	v_lshrrev_b32_e32 v37, 2, v37
	v_lshrrev_b32_e32 v3, 16, v3
	v_cmp_lt_i32_e64 s1, 5, v39
	v_cmp_eq_u32_e64 s2, 3, v39
	v_cndmask_b32_e32 v23, v73, v23, vcc_lo
	v_cmp_gt_i32_e32 vcc_lo, 1, v36
	v_and_b32_e32 v41, 7, v33
	v_lshrrev_b32_e32 v33, 2, v33
	v_cndmask_b32_e32 v26, v74, v26, vcc_lo
	v_cmp_gt_i32_e32 vcc_lo, 1, v40
	v_cmp_lt_i32_e64 s3, 5, v41
	v_cmp_eq_u32_e64 s4, 3, v41
	v_and_b32_e32 v39, 7, v26
	v_cndmask_b32_e32 v29, v75, v29, vcc_lo
	v_cmp_lt_i32_e32 vcc_lo, 5, v38
	v_and_b32_e32 v38, 7, v23
	v_lshrrev_b32_e32 v23, 2, v23
	v_cmp_lt_i32_e64 s7, 5, v39
	v_cmp_eq_u32_e64 s8, 3, v39
	s_or_b32 vcc_lo, s0, vcc_lo
	v_cmp_lt_i32_e64 s5, 5, v38
	v_cmp_eq_u32_e64 s6, 3, v38
	v_add_co_ci_u32_e32 v35, vcc_lo, 0, v35, vcc_lo
	s_or_b32 vcc_lo, s2, s1
	v_lshrrev_b32_e32 v26, 2, v26
	v_add_co_ci_u32_e32 v37, vcc_lo, 0, v37, vcc_lo
	s_or_b32 vcc_lo, s6, s5
	v_and_b32_e32 v41, 7, v29
	v_add_co_ci_u32_e32 v23, vcc_lo, 0, v23, vcc_lo
	s_or_b32 vcc_lo, s4, s3
	v_lshrrev_b32_e32 v29, 2, v29
	v_add_co_ci_u32_e32 v33, vcc_lo, 0, v33, vcc_lo
	s_or_b32 vcc_lo, s8, s7
	v_cmp_lt_i32_e64 s9, 5, v41
	v_add_co_ci_u32_e32 v26, vcc_lo, 0, v26, vcc_lo
	v_cmp_gt_i32_e32 vcc_lo, 31, v34
	v_cmp_eq_u32_e64 s10, 3, v41
	v_cndmask_b32_e32 v23, 0x7c00, v23, vcc_lo
	v_cmp_gt_i32_e32 vcc_lo, 31, v24
	v_cndmask_b32_e32 v35, 0x7c00, v35, vcc_lo
	v_cmp_gt_i32_e32 vcc_lo, 31, v28
	;; [unrolled: 2-line block ×3, first 2 shown]
	v_cndmask_b32_e32 v26, 0x7c00, v26, vcc_lo
	v_cmp_eq_u32_e32 vcc_lo, 0x40f, v34
	v_cndmask_b32_e32 v9, v23, v9, vcc_lo
	s_or_b32 vcc_lo, s10, s9
	v_add_co_ci_u32_e32 v23, vcc_lo, 0, v29, vcc_lo
	v_cmp_gt_i32_e32 vcc_lo, 31, v30
	v_and_or_b32 v9, 0x8000, v10, v9
	v_cndmask_b32_e32 v29, 0x7c00, v33, vcc_lo
	v_cmp_eq_u32_e32 vcc_lo, 0x40f, v24
	v_and_b32_e32 v9, 0xffff, v9
	v_cndmask_b32_e32 v11, v35, v11, vcc_lo
	v_cmp_eq_u32_e32 vcc_lo, 0x40f, v36
	v_and_or_b32 v11, 0x8000, v12, v11
	v_cndmask_b32_e32 v15, v26, v15, vcc_lo
	v_cmp_eq_u32_e32 vcc_lo, 0x40f, v28
	v_lshl_or_b32 v9, v11, 16, v9
	v_and_or_b32 v12, 0x8000, v16, v15
	v_cndmask_b32_e32 v10, v37, v25, vcc_lo
	v_cmp_gt_i32_e32 vcc_lo, 31, v40
	v_sub_nc_u32_e32 v16, 0x3f1, v32
	global_store_dword v[7:8], v9, off
	v_and_b32_e32 v12, 0xffff, v12
	v_and_or_b32 v10, 0x8000, v27, v10
	v_cndmask_b32_e32 v23, 0x7c00, v23, vcc_lo
	v_cmp_eq_u32_e32 vcc_lo, 0x40f, v30
	v_med3_i32 v16, v16, 0, 13
	v_cndmask_b32_e32 v13, v29, v13, vcc_lo
	v_cmp_eq_u32_e32 vcc_lo, 0x40f, v40
	v_and_or_b32 v13, 0x8000, v14, v13
	v_cndmask_b32_e32 v15, v23, v19, vcc_lo
	v_cmp_ne_u32_e32 vcc_lo, v44, v76
	v_or_b32_e32 v19, 0x1000, v2
	v_and_or_b32 v14, 0x8000, v20, v15
	v_cndmask_b32_e64 v11, 0, 1, vcc_lo
	v_add_nc_u32_e32 v15, 0xfffffc10, v43
	v_lshl_or_b32 v20, v10, 16, v12
	v_lshrrev_b32_e32 v23, v16, v19
	v_or_b32_e32 v10, v80, v11
	v_lshl_or_b32 v11, v15, 12, v21
	v_cmp_gt_i32_e32 vcc_lo, 1, v15
	v_lshlrev_b32_e32 v12, v16, v23
	v_cndmask_b32_e32 v24, v11, v10, vcc_lo
	v_cmp_ne_u32_e64 s0, v12, v19
	v_mul_f64 v[9:10], v[17:18], s[14:15]
	v_and_b32_e32 v11, 0xffff, v14
	v_add_co_u32 v7, vcc_lo, v7, s16
	v_and_b32_e32 v5, 7, v24
	v_add_co_ci_u32_e32 v8, vcc_lo, s17, v8, vcc_lo
	v_cndmask_b32_e64 v16, 0, 1, s0
	v_lshl_or_b32 v17, v13, 16, v11
	v_cmp_lt_i32_e32 vcc_lo, 5, v5
	v_cmp_eq_u32_e64 s0, 3, v5
	v_cvt_f64_f32_e32 v[11:12], v0
	v_lshrrev_b32_e32 v0, 2, v24
	v_add_nc_u32_e32 v18, 0xfffffc10, v32
	v_or_b32_e32 v5, v23, v16
	s_or_b32 vcc_lo, s0, vcc_lo
	v_add_co_u32 v13, s1, v7, s16
	v_add_co_ci_u32_e32 v0, vcc_lo, 0, v0, vcc_lo
	v_cmp_ne_u32_e32 vcc_lo, 0, v21
	v_lshl_or_b32 v16, v18, 12, v2
	v_and_or_b32 v9, 0x1ff, v10, v9
	v_add_co_ci_u32_e64 v14, s1, s17, v8, s1
	v_cndmask_b32_e64 v19, 0, 1, vcc_lo
	v_cmp_gt_i32_e32 vcc_lo, 1, v18
	global_store_dword v[7:8], v20, off
	v_bfe_u32 v20, v10, 20, 11
	global_store_dword v[13:14], v17, off
	v_lshl_or_b32 v7, v19, 9, 0x7c00
	v_cndmask_b32_e32 v5, v16, v5, vcc_lo
	v_cmp_gt_i32_e32 vcc_lo, 31, v15
	v_mul_f64 v[11:12], v[11:12], s[14:15]
	v_lshrrev_b32_e32 v16, 8, v10
	v_lshrrev_b32_e32 v19, 16, v6
	v_and_b32_e32 v8, 7, v5
	v_cndmask_b32_e32 v0, 0x7c00, v0, vcc_lo
	v_cmp_ne_u32_e32 vcc_lo, 0, v9
	v_lshrrev_b32_e32 v5, 2, v5
	v_add_co_u32 v13, s1, v13, s16
	v_cmp_eq_u32_e64 s0, 3, v8
	v_cndmask_b32_e64 v9, 0, 1, vcc_lo
	v_cmp_eq_u32_e32 vcc_lo, 0x40f, v15
	v_lshrrev_b32_e32 v15, 16, v22
	v_add_co_ci_u32_e64 v14, s1, s17, v14, s1
	v_and_or_b32 v9, 0xffe, v16, v9
	v_cndmask_b32_e32 v0, v0, v7, vcc_lo
	v_cmp_lt_i32_e32 vcc_lo, 5, v8
	v_sub_nc_u32_e32 v16, 0x3f1, v20
	v_mul_f16_sdwa v7, v65, v19 dst_sel:DWORD dst_unused:UNUSED_PAD src0_sel:WORD_1 src1_sel:DWORD
	v_or_b32_e32 v21, 0x1000, v9
	v_and_or_b32 v0, 0x8000, v15, v0
	s_or_b32 vcc_lo, s0, vcc_lo
	v_med3_i32 v16, v16, 0, 13
	v_add_co_ci_u32_e32 v5, vcc_lo, 0, v5, vcc_lo
	v_cmp_ne_u32_e32 vcc_lo, 0, v2
	v_fmac_f16_e32 v7, v65, v6
	v_lshrrev_b32_e32 v22, v16, v21
	v_and_or_b32 v11, 0x1ff, v12, v11
	v_lshrrev_b32_e32 v23, 8, v12
	v_cndmask_b32_e64 v2, 0, 1, vcc_lo
	v_cmp_gt_i32_e32 vcc_lo, 31, v18
	v_cvt_f32_f16_e32 v7, v7
	v_lshlrev_b32_e32 v16, v16, v22
	v_bfe_u32 v24, v12, 20, 11
	v_lshl_or_b32 v2, v2, 9, 0x7c00
	v_cndmask_b32_e32 v5, 0x7c00, v5, vcc_lo
	v_cmp_ne_u32_e32 vcc_lo, 0, v11
	v_cvt_f64_f32_e32 v[7:8], v7
	v_add_nc_u32_e32 v20, 0xfffffc10, v20
	v_mul_f16_sdwa v6, v65, v6 dst_sel:DWORD dst_unused:UNUSED_PAD src0_sel:WORD_1 src1_sel:DWORD
	v_and_b32_e32 v0, 0xffff, v0
	v_cndmask_b32_e64 v11, 0, 1, vcc_lo
	v_cmp_ne_u32_e32 vcc_lo, v16, v21
	v_add_nc_u32_e32 v17, 0xfffffc10, v24
	v_cmp_eq_u32_e64 s1, 0x40f, v20
	v_lshrrev_b32_e32 v10, 16, v10
	v_and_or_b32 v11, 0xffe, v23, v11
	v_cndmask_b32_e64 v15, 0, 1, vcc_lo
	v_cmp_eq_u32_e32 vcc_lo, 0x40f, v18
	v_or_b32_e32 v21, 0x1000, v11
	v_or_b32_e32 v18, v22, v15
	v_cndmask_b32_e32 v2, v5, v2, vcc_lo
	v_sub_nc_u32_e32 v5, 0x3f1, v24
	v_lshl_or_b32 v22, v20, 12, v9
	v_cmp_gt_i32_e32 vcc_lo, 1, v20
	v_and_or_b32 v2, 0x8000, v3, v2
	v_med3_i32 v5, v5, 0, 13
	v_mul_f64 v[15:16], v[7:8], s[14:15]
	v_cndmask_b32_e32 v7, v22, v18, vcc_lo
	v_fma_f16 v3, v65, v19, -v6
	v_lshl_or_b32 v0, v2, 16, v0
	v_lshrrev_b32_e32 v8, v5, v21
	v_and_b32_e32 v6, 7, v7
	v_cvt_f32_f16_e32 v3, v3
	global_store_dword v[13:14], v0, off
	v_lshlrev_b32_e32 v5, v5, v8
	v_cmp_lt_i32_e32 vcc_lo, 5, v6
	v_cvt_f64_f32_e32 v[2:3], v3
	v_cmp_ne_u32_e64 s0, v5, v21
	v_cndmask_b32_e64 v5, 0, 1, s0
	v_cmp_eq_u32_e64 s0, 3, v6
	v_lshrrev_b32_e32 v6, 2, v7
	v_and_or_b32 v7, 0x1ff, v16, v15
	v_or_b32_e32 v5, v8, v5
	s_or_b32 vcc_lo, s0, vcc_lo
	v_lshl_or_b32 v8, v17, 12, v11
	v_add_co_ci_u32_e32 v15, vcc_lo, 0, v6, vcc_lo
	v_cmp_gt_i32_e32 vcc_lo, 1, v17
	v_lshrrev_b32_e32 v6, 8, v16
	v_cndmask_b32_e32 v18, v8, v5, vcc_lo
	v_cmp_ne_u32_e32 vcc_lo, 0, v7
	v_bfe_u32 v7, v16, 20, 11
	v_and_b32_e32 v21, 7, v18
	v_cndmask_b32_e64 v5, 0, 1, vcc_lo
	v_cmp_ne_u32_e32 vcc_lo, 0, v9
	ds_read2_b32 v[8:9], v53 offset0:144 offset1:192
	v_sub_nc_u32_e32 v23, 0x3f1, v7
	v_cmp_eq_u32_e64 s0, 3, v21
	v_and_or_b32 v22, 0xffe, v6, v5
	v_cndmask_b32_e64 v19, 0, 1, vcc_lo
	v_cmp_gt_i32_e32 vcc_lo, 31, v20
	v_mul_f64 v[5:6], v[2:3], s[14:15]
	v_lshrrev_b32_e32 v18, 2, v18
	v_add_nc_u32_e32 v7, 0xfffffc10, v7
	v_lshl_or_b32 v3, v19, 9, 0x7c00
	v_cndmask_b32_e32 v2, 0x7c00, v15, vcc_lo
	v_or_b32_e32 v15, 0x1000, v22
	v_med3_i32 v19, v23, 0, 13
	v_cmp_lt_i32_e32 vcc_lo, 5, v21
	v_lshl_or_b32 v24, v7, 12, v22
	v_cndmask_b32_e64 v20, v2, v3, s1
	v_lshrrev_b32_e32 v21, v19, v15
	s_or_b32 vcc_lo, s0, vcc_lo
	v_add_co_ci_u32_e32 v3, vcc_lo, 0, v18, vcc_lo
	v_lshlrev_b32_e32 v2, v19, v21
	v_cmp_ne_u32_e32 vcc_lo, 0, v11
	s_waitcnt lgkmcnt(0)
	v_lshrrev_b32_e32 v23, 16, v9
	v_and_or_b32 v20, 0x8000, v10, v20
	v_cndmask_b32_e64 v11, 0, 1, vcc_lo
	v_cmp_ne_u32_e32 vcc_lo, v2, v15
	v_mul_f16_sdwa v18, v64, v23 dst_sel:DWORD dst_unused:UNUSED_PAD src0_sel:WORD_1 src1_sel:DWORD
	v_and_or_b32 v5, 0x1ff, v6, v5
	v_bfe_u32 v19, v6, 20, 11
	v_lshl_or_b32 v11, v11, 9, 0x7c00
	v_cndmask_b32_e64 v2, 0, 1, vcc_lo
	v_cmp_gt_i32_e32 vcc_lo, 31, v17
	v_fmac_f16_e32 v18, v64, v9
	v_mul_f16_sdwa v9, v64, v9 dst_sel:DWORD dst_unused:UNUSED_PAD src0_sel:WORD_1 src1_sel:DWORD
	v_and_b32_e32 v20, 0xffff, v20
	v_or_b32_e32 v21, v21, v2
	v_cndmask_b32_e32 v15, 0x7c00, v3, vcc_lo
	v_cmp_ne_u32_e32 vcc_lo, 0, v5
	v_cvt_f32_f16_e32 v3, v18
	v_lshrrev_b32_e32 v18, 8, v6
	v_fma_f16 v9, v64, v23, -v9
	v_lshrrev_b32_e32 v23, 16, v12
	v_cndmask_b32_e64 v5, 0, 1, vcc_lo
	v_cvt_f64_f32_e32 v[2:3], v3
	v_cmp_gt_i32_e32 vcc_lo, 1, v7
	v_cvt_f32_f16_e32 v12, v9
	v_and_or_b32 v5, 0xffe, v18, v5
	v_sub_nc_u32_e32 v18, 0x3f1, v19
	v_cndmask_b32_e32 v21, v24, v21, vcc_lo
	v_cmp_eq_u32_e32 vcc_lo, 0x40f, v17
	v_add_nc_u32_e32 v19, 0xfffffc10, v19
	v_or_b32_e32 v24, 0x1000, v5
	v_med3_i32 v18, v18, 0, 13
	v_cndmask_b32_e32 v15, v15, v11, vcc_lo
	v_and_b32_e32 v11, 7, v21
	v_lshrrev_b32_e32 v21, 2, v21
	v_lshrrev_b32_e32 v17, v18, v24
	v_and_or_b32 v15, 0x8000, v23, v15
	v_cmp_lt_i32_e32 vcc_lo, 5, v11
	v_cmp_eq_u32_e64 s0, 3, v11
	v_lshlrev_b32_e32 v18, v18, v17
	v_cvt_f64_f32_e32 v[11:12], v12
	v_mul_f64 v[9:10], v[2:3], s[14:15]
	ds_read2_b32 v[2:3], v53 offset0:208 offset1:224
	s_or_b32 vcc_lo, s0, vcc_lo
	v_lshl_or_b32 v23, v15, 16, v20
	v_add_co_ci_u32_e32 v21, vcc_lo, 0, v21, vcc_lo
	v_cmp_ne_u32_e32 vcc_lo, v18, v24
	v_cndmask_b32_e64 v18, 0, 1, vcc_lo
	v_cmp_ne_u32_e32 vcc_lo, 0, v22
	v_or_b32_e32 v17, v17, v18
	v_cndmask_b32_e64 v22, 0, 1, vcc_lo
	v_cmp_gt_i32_e32 vcc_lo, 31, v7
	v_lshl_or_b32 v18, v19, 12, v5
	v_mul_f64 v[11:12], v[11:12], s[14:15]
	v_lshl_or_b32 v22, v22, 9, 0x7c00
	v_cndmask_b32_e32 v21, 0x7c00, v21, vcc_lo
	v_cmp_gt_i32_e32 vcc_lo, 1, v19
	v_and_or_b32 v9, 0x1ff, v10, v9
	s_waitcnt lgkmcnt(0)
	v_lshrrev_b32_e32 v20, 16, v3
	v_cndmask_b32_e32 v0, v18, v17, vcc_lo
	v_cmp_eq_u32_e32 vcc_lo, 0x40f, v7
	v_lshrrev_b32_e32 v17, 16, v16
	v_lshrrev_b32_e32 v16, 8, v10
	v_bfe_u32 v18, v10, 20, 11
	v_and_b32_e32 v15, 7, v0
	v_cndmask_b32_e32 v7, v21, v22, vcc_lo
	v_cmp_ne_u32_e32 vcc_lo, 0, v9
	v_mul_f16_sdwa v21, v63, v20 dst_sel:DWORD dst_unused:UNUSED_PAD src0_sel:WORD_1 src1_sel:DWORD
	v_lshrrev_b32_e32 v0, 2, v0
	v_cmp_eq_u32_e64 s0, 3, v15
	v_cndmask_b32_e64 v9, 0, 1, vcc_lo
	v_add_co_u32 v13, vcc_lo, v13, s16
	v_add_co_ci_u32_e32 v14, vcc_lo, s17, v14, vcc_lo
	v_and_or_b32 v9, 0xffe, v16, v9
	v_sub_nc_u32_e32 v16, 0x3f1, v18
	v_cmp_lt_i32_e32 vcc_lo, 5, v15
	v_fmac_f16_e32 v21, v63, v3
	v_and_or_b32 v11, 0x1ff, v12, v11
	v_or_b32_e32 v22, 0x1000, v9
	v_med3_i32 v24, v16, 0, 13
	s_or_b32 vcc_lo, s0, vcc_lo
	v_cvt_f32_f16_e32 v15, v21
	v_add_co_ci_u32_e32 v0, vcc_lo, 0, v0, vcc_lo
	v_lshrrev_b32_e32 v21, v24, v22
	v_cmp_ne_u32_e32 vcc_lo, 0, v11
	v_lshrrev_b32_e32 v25, 8, v12
	v_bfe_u32 v26, v12, 20, 11
	v_cvt_f64_f32_e32 v[15:16], v15
	v_lshlrev_b32_e32 v24, v24, v21
	v_cndmask_b32_e64 v11, 0, 1, vcc_lo
	v_cmp_ne_u32_e32 vcc_lo, 0, v5
	v_mul_f16_sdwa v3, v63, v3 dst_sel:DWORD dst_unused:UNUSED_PAD src0_sel:WORD_1 src1_sel:DWORD
	v_lshrrev_b32_e32 v12, 16, v12
	global_store_dword v[13:14], v23, off
	v_and_or_b32 v11, 0xffe, v25, v11
	v_cndmask_b32_e64 v5, 0, 1, vcc_lo
	v_cmp_ne_u32_e32 vcc_lo, v24, v22
	v_sub_nc_u32_e32 v25, 0x3f1, v26
	v_add_nc_u32_e32 v24, 0xfffffc10, v18
	v_or_b32_e32 v27, 0x1000, v11
	v_lshl_or_b32 v5, v5, 9, 0x7c00
	v_cndmask_b32_e64 v22, 0, 1, vcc_lo
	v_cmp_gt_i32_e32 vcc_lo, 31, v19
	v_med3_i32 v18, v25, 0, 13
	v_fma_f16 v3, v63, v20, -v3
	v_or_b32_e32 v21, v21, v22
	v_cndmask_b32_e32 v0, 0x7c00, v0, vcc_lo
	v_lshl_or_b32 v22, v24, 12, v9
	v_cmp_gt_i32_e32 vcc_lo, 1, v24
	v_lshrrev_b32_e32 v25, v18, v27
	v_cvt_f32_f16_e32 v3, v3
	v_mul_f64 v[15:16], v[15:16], s[14:15]
	v_cndmask_b32_e32 v21, v22, v21, vcc_lo
	v_cmp_eq_u32_e32 vcc_lo, 0x40f, v19
	v_lshlrev_b32_e32 v19, v18, v25
	v_add_nc_u32_e32 v22, 0xfffffc10, v26
	v_cndmask_b32_e32 v0, v0, v5, vcc_lo
	v_lshrrev_b32_e32 v5, 16, v6
	v_and_or_b32 v6, 0x8000, v17, v7
	v_and_b32_e32 v7, 7, v21
	v_cmp_ne_u32_e64 s0, v19, v27
	v_cvt_f64_f32_e32 v[17:18], v3
	v_and_or_b32 v0, 0x8000, v5, v0
	v_and_b32_e32 v3, 0xffff, v6
	v_cmp_lt_i32_e32 vcc_lo, 5, v7
	v_cndmask_b32_e64 v5, 0, 1, s0
	v_cmp_eq_u32_e64 s0, 3, v7
	v_lshl_or_b32 v6, v22, 12, v11
	v_lshl_or_b32 v0, v0, 16, v3
	v_lshrrev_b32_e32 v3, 2, v21
	v_or_b32_e32 v5, v25, v5
	s_or_b32 vcc_lo, s0, vcc_lo
	v_and_or_b32 v7, 0x1ff, v16, v15
	v_lshrrev_b32_e32 v25, 8, v16
	v_add_co_ci_u32_e32 v3, vcc_lo, 0, v3, vcc_lo
	v_cmp_ne_u32_e32 vcc_lo, 0, v9
	v_bfe_u32 v26, v16, 20, 11
	v_cndmask_b32_e64 v9, 0, 1, vcc_lo
	v_cmp_gt_i32_e32 vcc_lo, 1, v22
	v_mul_f64 v[17:18], v[17:18], s[14:15]
	v_lshl_or_b32 v9, v9, 9, 0x7c00
	v_cndmask_b32_e32 v15, v6, v5, vcc_lo
	v_cmp_gt_i32_e32 vcc_lo, 31, v24
	ds_read2_b32 v[5:6], v72 offset0:112 offset1:128
	v_and_b32_e32 v21, 7, v15
	v_cndmask_b32_e32 v3, 0x7c00, v3, vcc_lo
	v_cmp_ne_u32_e32 vcc_lo, 0, v7
	v_cmp_eq_u32_e64 s0, 3, v21
	v_cndmask_b32_e64 v7, 0, 1, vcc_lo
	v_add_co_u32 v19, vcc_lo, v13, s16
	v_add_co_ci_u32_e32 v20, vcc_lo, s17, v14, vcc_lo
	v_cmp_eq_u32_e32 vcc_lo, 0x40f, v24
	v_and_or_b32 v24, 0xffe, v25, v7
	v_sub_nc_u32_e32 v7, 0x3f1, v26
	v_and_or_b32 v17, 0x1ff, v18, v17
	v_bfe_u32 v29, v18, 20, 11
	v_cndmask_b32_e32 v3, v3, v9, vcc_lo
	v_cmp_lt_i32_e32 vcc_lo, 5, v21
	v_lshrrev_b32_e32 v9, 2, v15
	s_waitcnt lgkmcnt(0)
	v_lshrrev_b32_e32 v25, 16, v6
	v_or_b32_e32 v15, 0x1000, v24
	v_med3_i32 v7, v7, 0, 13
	s_or_b32 vcc_lo, s0, vcc_lo
	v_lshrrev_b32_e32 v21, 16, v10
	v_add_co_ci_u32_e32 v9, vcc_lo, 0, v9, vcc_lo
	v_cmp_ne_u32_e32 vcc_lo, 0, v11
	v_mul_f16_sdwa v10, v61, v25 dst_sel:DWORD dst_unused:UNUSED_PAD src0_sel:WORD_1 src1_sel:DWORD
	v_lshrrev_b32_e32 v27, v7, v15
	v_sub_nc_u32_e32 v30, 0x3f1, v29
	v_and_or_b32 v3, 0x8000, v21, v3
	v_cndmask_b32_e64 v11, 0, 1, vcc_lo
	v_cmp_gt_i32_e32 vcc_lo, 31, v22
	v_fmac_f16_e32 v10, v61, v6
	v_lshlrev_b32_e32 v7, v7, v27
	v_med3_i32 v30, v30, 0, 13
	v_lshl_or_b32 v11, v11, 9, 0x7c00
	v_cndmask_b32_e32 v28, 0x7c00, v9, vcc_lo
	v_cmp_ne_u32_e32 vcc_lo, 0, v17
	v_lshrrev_b32_e32 v17, 8, v18
	v_cvt_f32_f16_e32 v10, v10
	v_mul_f16_sdwa v6, v61, v6 dst_sel:DWORD dst_unused:UNUSED_PAD src0_sel:WORD_1 src1_sel:DWORD
	v_and_b32_e32 v3, 0xffff, v3
	v_cndmask_b32_e64 v9, 0, 1, vcc_lo
	v_cmp_ne_u32_e32 vcc_lo, v7, v15
	v_add_nc_u32_e32 v15, 0xfffffc10, v26
	v_fma_f16 v6, v61, v25, -v6
	global_store_dword v[19:20], v0, off
	v_and_or_b32 v17, 0xffe, v17, v9
	v_cvt_f64_f32_e32 v[9:10], v10
	v_cndmask_b32_e64 v7, 0, 1, vcc_lo
	v_cmp_eq_u32_e32 vcc_lo, 0x40f, v22
	v_lshl_or_b32 v25, v15, 12, v24
	v_or_b32_e32 v26, 0x1000, v17
	v_cvt_f32_f16_e32 v6, v6
	v_or_b32_e32 v7, v27, v7
	v_cndmask_b32_e32 v11, v28, v11, vcc_lo
	v_cmp_gt_i32_e32 vcc_lo, 1, v15
	v_lshrrev_b32_e32 v22, v30, v26
	v_lshrrev_b32_e32 v18, 16, v18
	v_cndmask_b32_e32 v25, v25, v7, vcc_lo
	v_lshlrev_b32_e32 v21, v30, v22
	v_and_or_b32 v7, 0x8000, v12, v11
	v_cvt_f64_f32_e32 v[11:12], v6
	v_and_b32_e32 v6, 7, v25
	v_cmp_ne_u32_e32 vcc_lo, v21, v26
	v_lshl_or_b32 v0, v7, 16, v3
	v_lshrrev_b32_e32 v13, 2, v25
	v_mul_f64 v[9:10], v[9:10], s[14:15]
	v_cmp_eq_u32_e64 s0, 3, v6
	v_cndmask_b32_e64 v3, 0, 1, vcc_lo
	v_cmp_lt_i32_e32 vcc_lo, 5, v6
	ds_read2_b32 v[6:7], v62 offset0:16 offset1:32
	v_add_nc_u32_e32 v21, 0xfffffc10, v29
	v_or_b32_e32 v3, v22, v3
	s_or_b32 vcc_lo, s0, vcc_lo
	v_add_co_ci_u32_e32 v22, vcc_lo, 0, v13, vcc_lo
	v_cmp_ne_u32_e32 vcc_lo, 0, v24
	v_lshl_or_b32 v14, v21, 12, v17
	v_mul_f64 v[11:12], v[11:12], s[14:15]
	v_cndmask_b32_e64 v23, 0, 1, vcc_lo
	v_cmp_gt_i32_e32 vcc_lo, 1, v21
	v_and_or_b32 v9, 0x1ff, v10, v9
	v_cndmask_b32_e32 v3, v14, v3, vcc_lo
	v_add_co_u32 v13, vcc_lo, v19, s16
	v_add_co_ci_u32_e32 v14, vcc_lo, s17, v20, vcc_lo
	v_cmp_gt_i32_e32 vcc_lo, 31, v15
	v_lshl_or_b32 v20, v23, 9, 0x7c00
	v_lshrrev_b32_e32 v23, 8, v10
	v_bfe_u32 v24, v10, 20, 11
	global_store_dword v[13:14], v0, off
	v_cndmask_b32_e32 v19, 0x7c00, v22, vcc_lo
	s_waitcnt lgkmcnt(0)
	v_lshrrev_b32_e32 v22, 16, v7
	v_cmp_ne_u32_e32 vcc_lo, 0, v9
	v_and_b32_e32 v26, 7, v3
	v_lshrrev_b32_e32 v3, 2, v3
	v_and_or_b32 v11, 0x1ff, v12, v11
	v_mul_f16_sdwa v25, v60, v22 dst_sel:DWORD dst_unused:UNUSED_PAD src0_sel:WORD_1 src1_sel:DWORD
	v_cndmask_b32_e64 v9, 0, 1, vcc_lo
	v_cmp_eq_u32_e32 vcc_lo, 0x40f, v15
	v_cmp_eq_u32_e64 s0, 3, v26
	v_cmp_ne_u32_e64 s1, 0, v11
	v_fmac_f16_e32 v25, v60, v7
	v_and_or_b32 v0, 0xffe, v23, v9
	v_sub_nc_u32_e32 v9, 0x3f1, v24
	v_cndmask_b32_e32 v23, v19, v20, vcc_lo
	v_cmp_lt_i32_e32 vcc_lo, 5, v26
	v_cvt_f32_f16_e32 v19, v25
	v_or_b32_e32 v15, 0x1000, v0
	v_med3_i32 v9, v9, 0, 13
	v_cndmask_b32_e64 v11, 0, 1, s1
	s_or_b32 vcc_lo, s0, vcc_lo
	v_cvt_f64_f32_e32 v[19:20], v19
	v_add_co_ci_u32_e32 v3, vcc_lo, 0, v3, vcc_lo
	v_lshrrev_b32_e32 v25, v9, v15
	v_lshrrev_b32_e32 v26, 8, v12
	v_bfe_u32 v27, v12, 20, 11
	v_cmp_ne_u32_e32 vcc_lo, 0, v17
	v_add_nc_u32_e32 v24, 0xfffffc10, v24
	v_lshlrev_b32_e32 v9, v9, v25
	v_and_or_b32 v11, 0xffe, v26, v11
	v_sub_nc_u32_e32 v26, 0x3f1, v27
	v_cndmask_b32_e64 v17, 0, 1, vcc_lo
	v_mul_f16_sdwa v7, v60, v7 dst_sel:DWORD dst_unused:UNUSED_PAD src0_sel:WORD_1 src1_sel:DWORD
	v_cmp_ne_u32_e32 vcc_lo, v9, v15
	v_or_b32_e32 v15, 0x1000, v11
	v_med3_i32 v26, v26, 0, 13
	v_lshl_or_b32 v17, v17, 9, 0x7c00
	v_fma_f16 v7, v60, v22, -v7
	v_cndmask_b32_e64 v9, 0, 1, vcc_lo
	v_cmp_gt_i32_e32 vcc_lo, 31, v21
	v_lshrrev_b32_e32 v28, v26, v15
	v_lshrrev_b32_e32 v22, 16, v16
	v_mul_f64 v[19:20], v[19:20], s[14:15]
	v_or_b32_e32 v9, v25, v9
	v_cndmask_b32_e32 v3, 0x7c00, v3, vcc_lo
	v_lshl_or_b32 v25, v24, 12, v0
	v_cmp_gt_i32_e32 vcc_lo, 1, v24
	v_cvt_f32_f16_e32 v7, v7
	v_lshrrev_b32_e32 v12, 16, v12
	v_cndmask_b32_e32 v9, v25, v9, vcc_lo
	v_lshlrev_b32_e32 v25, v26, v28
	v_cmp_eq_u32_e32 vcc_lo, 0x40f, v21
	v_lshrrev_b32_e32 v26, 16, v10
	v_cndmask_b32_e32 v3, v3, v17, vcc_lo
	v_and_b32_e32 v17, 7, v9
	v_cmp_ne_u32_e32 vcc_lo, v25, v15
	v_cvt_f64_f32_e32 v[15:16], v7
	v_lshrrev_b32_e32 v9, 2, v9
	v_add_nc_u32_e32 v25, 0xfffffc10, v27
	v_cmp_eq_u32_e64 s0, 3, v17
	v_cndmask_b32_e64 v21, 0, 1, vcc_lo
	v_cmp_lt_i32_e32 vcc_lo, 5, v17
	v_and_or_b32 v3, 0x8000, v18, v3
	v_and_or_b32 v18, 0x1ff, v20, v19
	v_cmp_gt_i32_e64 s1, 1, v25
	v_or_b32_e32 v17, v28, v21
	s_or_b32 vcc_lo, s0, vcc_lo
	v_lshl_or_b32 v21, v25, 12, v11
	v_add_co_ci_u32_e32 v9, vcc_lo, 0, v9, vcc_lo
	v_cmp_ne_u32_e32 vcc_lo, 0, v0
	v_and_or_b32 v7, 0x8000, v22, v23
	v_cndmask_b32_e64 v17, v21, v17, s1
	v_lshrrev_b32_e32 v21, 8, v20
	v_bfe_u32 v22, v20, 20, 11
	v_cndmask_b32_e64 v0, 0, 1, vcc_lo
	v_cmp_ne_u32_e32 vcc_lo, 0, v18
	v_and_b32_e32 v19, 7, v17
	v_mul_f64 v[15:16], v[15:16], s[14:15]
	v_cmp_eq_u32_e64 s1, 0x40f, v24
	v_lshl_or_b32 v0, v0, 9, 0x7c00
	v_cndmask_b32_e64 v18, 0, 1, vcc_lo
	v_cmp_gt_i32_e32 vcc_lo, 31, v24
	v_cmp_eq_u32_e64 s0, 3, v19
	v_and_b32_e32 v7, 0xffff, v7
	v_lshrrev_b32_e32 v20, 16, v20
	v_and_or_b32 v18, 0xffe, v21, v18
	v_cndmask_b32_e32 v9, 0x7c00, v9, vcc_lo
	v_sub_nc_u32_e32 v21, 0x3f1, v22
	v_cmp_lt_i32_e32 vcc_lo, 5, v19
	v_add_nc_u32_e32 v22, 0xfffffc10, v22
	v_lshl_or_b32 v7, v3, 16, v7
	v_cndmask_b32_e64 v0, v9, v0, s1
	v_lshrrev_b32_e32 v9, 2, v17
	v_or_b32_e32 v17, 0x1000, v18
	v_med3_i32 v19, v21, 0, 13
	s_or_b32 vcc_lo, s0, vcc_lo
	v_lshrrev_b32_e32 v21, 16, v4
	v_add_co_ci_u32_e32 v9, vcc_lo, 0, v9, vcc_lo
	v_lshrrev_b32_e32 v23, v19, v17
	v_cmp_ne_u32_e32 vcc_lo, 0, v11
	v_mul_f16_sdwa v24, v59, v21 dst_sel:DWORD dst_unused:UNUSED_PAD src0_sel:WORD_1 src1_sel:DWORD
	v_and_or_b32 v15, 0x1ff, v16, v15
	v_bfe_u32 v27, v16, 20, 11
	v_lshlrev_b32_e32 v10, v19, v23
	v_cndmask_b32_e64 v11, 0, 1, vcc_lo
	v_cmp_gt_i32_e32 vcc_lo, 31, v25
	v_fmac_f16_e32 v24, v59, v4
	v_mul_f16_sdwa v4, v59, v4 dst_sel:DWORD dst_unused:UNUSED_PAD src0_sel:WORD_1 src1_sel:DWORD
	v_and_or_b32 v0, 0x8000, v26, v0
	v_lshl_or_b32 v11, v11, 9, 0x7c00
	v_cndmask_b32_e32 v19, 0x7c00, v9, vcc_lo
	v_cmp_ne_u32_e32 vcc_lo, v10, v17
	v_cvt_f32_f16_e32 v9, v24
	v_lshrrev_b32_e32 v24, 8, v16
	v_fma_f16 v3, v59, v21, -v4
	v_and_b32_e32 v0, 0xffff, v0
	v_cndmask_b32_e64 v17, 0, 1, vcc_lo
	v_cmp_ne_u32_e32 vcc_lo, 0, v15
	v_cvt_f64_f32_e32 v[9:10], v9
	v_or_b32_e32 v17, v23, v17
	v_cndmask_b32_e64 v15, 0, 1, vcc_lo
	v_sub_nc_u32_e32 v23, 0x3f1, v27
	v_cmp_eq_u32_e32 vcc_lo, 0x40f, v25
	v_and_or_b32 v15, 0xffe, v24, v15
	v_lshl_or_b32 v24, v22, 12, v18
	v_cndmask_b32_e32 v11, v19, v11, vcc_lo
	v_med3_i32 v23, v23, 0, 13
	v_cmp_gt_i32_e32 vcc_lo, 1, v22
	v_or_b32_e32 v19, 0x1000, v15
	v_cndmask_b32_e32 v17, v24, v17, vcc_lo
	v_lshrrev_b32_e32 v21, v23, v19
	v_and_or_b32 v24, 0x8000, v12, v11
	v_cvt_f32_f16_e32 v12, v3
	v_mul_f64 v[3:4], v[9:10], s[14:15]
	v_and_b32_e32 v11, 7, v17
	v_lshlrev_b32_e32 v23, v23, v21
	v_cvt_f64_f32_e32 v[9:10], v12
	v_cmp_lt_i32_e32 vcc_lo, 5, v11
	v_cmp_eq_u32_e64 s0, 3, v11
	v_cmp_ne_u32_e64 s1, v23, v19
	v_lshrrev_b32_e32 v11, 2, v17
	v_add_nc_u32_e32 v17, 0xfffffc10, v27
	v_mul_f16_sdwa v27, v58, v1 dst_sel:DWORD dst_unused:UNUSED_PAD src0_sel:WORD_1 src1_sel:DWORD
	s_or_b32 vcc_lo, s0, vcc_lo
	v_cndmask_b32_e64 v12, 0, 1, s1
	v_add_co_ci_u32_e32 v19, vcc_lo, 0, v11, vcc_lo
	v_add_co_u32 v11, vcc_lo, v13, s16
	v_or_b32_e32 v21, v21, v12
	v_add_co_ci_u32_e32 v12, vcc_lo, s17, v14, vcc_lo
	v_cmp_ne_u32_e32 vcc_lo, 0, v18
	v_lshl_or_b32 v23, v17, 12, v15
	v_lshl_or_b32 v18, v24, 16, v0
	v_and_or_b32 v3, 0x1ff, v4, v3
	global_store_dword v[11:12], v7, off
	v_cndmask_b32_e64 v13, 0, 1, vcc_lo
	v_cmp_gt_i32_e32 vcc_lo, 1, v17
	v_mul_f64 v[9:10], v[9:10], s[14:15]
	v_lshl_or_b32 v13, v13, 9, 0x7c00
	v_cndmask_b32_e32 v14, v23, v21, vcc_lo
	v_cmp_gt_i32_e32 vcc_lo, 31, v22
	v_bfe_u32 v21, v4, 20, 11
	v_cndmask_b32_e32 v0, 0x7c00, v19, vcc_lo
	v_cmp_eq_u32_e32 vcc_lo, 0x40f, v22
	v_and_b32_e32 v19, 7, v14
	v_lshrrev_b32_e32 v14, 2, v14
	v_cndmask_b32_e32 v0, v0, v13, vcc_lo
	v_cmp_ne_u32_e32 vcc_lo, 0, v3
	v_cmp_eq_u32_e64 s0, 3, v19
	v_lshrrev_b32_e32 v13, 8, v4
	v_and_or_b32 v0, 0x8000, v20, v0
	v_cndmask_b32_e64 v3, 0, 1, vcc_lo
	v_cmp_lt_i32_e32 vcc_lo, 5, v19
	v_lshrrev_b32_e32 v19, 16, v1
	v_and_or_b32 v9, 0x1ff, v10, v9
	v_bfe_u32 v26, v10, 20, 11
	v_and_or_b32 v3, 0xffe, v13, v3
	s_or_b32 vcc_lo, s0, vcc_lo
	v_sub_nc_u32_e32 v13, 0x3f1, v21
	v_add_co_ci_u32_e32 v14, vcc_lo, 0, v14, vcc_lo
	v_cmp_ne_u32_e32 vcc_lo, 0, v15
	v_or_b32_e32 v20, 0x1000, v3
	v_med3_i32 v13, v13, 0, 13
	v_mul_f16_sdwa v22, v58, v19 dst_sel:DWORD dst_unused:UNUSED_PAD src0_sel:WORD_1 src1_sel:DWORD
	v_cndmask_b32_e64 v15, 0, 1, vcc_lo
	v_cmp_gt_i32_e32 vcc_lo, 31, v17
	v_lshrrev_b32_e32 v23, v13, v20
	v_fmac_f16_e32 v22, v58, v1
	v_lshl_or_b32 v15, v15, 9, 0x7c00
	v_cndmask_b32_e32 v24, 0x7c00, v14, vcc_lo
	v_cmp_ne_u32_e32 vcc_lo, 0, v9
	v_lshlrev_b32_e32 v25, v13, v23
	v_cvt_f32_f16_e32 v13, v22
	v_lshrrev_b32_e32 v22, 8, v10
	v_lshrrev_b32_e32 v10, 16, v10
	v_cndmask_b32_e64 v9, 0, 1, vcc_lo
	v_cmp_eq_u32_e32 vcc_lo, 0x40f, v17
	v_cvt_f64_f32_e32 v[13:14], v13
	v_and_or_b32 v9, 0xffe, v22, v9
	v_cndmask_b32_e32 v17, v24, v15, vcc_lo
	v_cmp_ne_u32_e32 vcc_lo, v25, v20
	v_add_nc_u32_e32 v20, 0xfffffc10, v21
	v_sub_nc_u32_e32 v21, 0x3f1, v26
	v_lshrrev_b32_e32 v22, 16, v16
	v_or_b32_e32 v25, 0x1000, v9
	v_cndmask_b32_e64 v15, 0, 1, vcc_lo
	v_lshl_or_b32 v24, v20, 12, v3
	v_med3_i32 v21, v21, 0, 13
	v_and_or_b32 v17, 0x8000, v22, v17
	v_or_b32_e32 v23, v23, v15
	v_add_co_u32 v15, vcc_lo, v11, s16
	v_add_co_ci_u32_e32 v16, vcc_lo, s17, v12, vcc_lo
	v_lshrrev_b32_e32 v22, v21, v25
	v_cmp_gt_i32_e32 vcc_lo, 1, v20
	v_fma_f16 v12, v58, v19, -v27
	global_store_dword v[15:16], v18, off
	v_add_nc_u32_e32 v18, 0xfffffc10, v26
	v_lshlrev_b32_e32 v11, v21, v22
	v_cndmask_b32_e32 v23, v24, v23, vcc_lo
	v_and_b32_e32 v24, 0xffff, v0
	v_mul_f64 v[0:1], v[13:14], s[14:15]
	v_lshl_or_b32 v14, v18, 12, v9
	v_cmp_ne_u32_e64 s0, v11, v25
	v_and_b32_e32 v7, 7, v23
	v_cvt_f32_f16_e32 v12, v12
	v_lshl_or_b32 v17, v17, 16, v24
	v_cndmask_b32_e64 v11, 0, 1, s0
	v_cmp_lt_i32_e32 vcc_lo, 5, v7
	v_cmp_eq_u32_e64 s0, 3, v7
	v_lshrrev_b32_e32 v7, 2, v23
	v_or_b32_e32 v13, v22, v11
	v_cvt_f64_f32_e32 v[11:12], v12
	s_or_b32 vcc_lo, s0, vcc_lo
	v_add_co_ci_u32_e32 v7, vcc_lo, 0, v7, vcc_lo
	v_cmp_gt_i32_e32 vcc_lo, 1, v18
	v_and_or_b32 v0, 0x1ff, v1, v0
	v_cndmask_b32_e32 v19, v14, v13, vcc_lo
	v_cmp_ne_u32_e32 vcc_lo, 0, v3
	ds_read2_b32 v[13:14], v53 offset0:80 offset1:112
	v_lshrrev_b32_e32 v22, 8, v1
	v_bfe_u32 v23, v1, 20, 11
	v_and_b32_e32 v21, 7, v19
	v_cndmask_b32_e64 v3, 0, 1, vcc_lo
	v_add_co_u32 v15, vcc_lo, v15, s16
	v_add_co_ci_u32_e32 v16, vcc_lo, s17, v16, vcc_lo
	v_cmp_gt_i32_e32 vcc_lo, 31, v20
	v_cmp_eq_u32_e64 s0, 3, v21
	v_lshrrev_b32_e32 v19, 2, v19
	v_mul_f64 v[11:12], v[11:12], s[14:15]
	v_lshl_or_b32 v3, v3, 9, 0x7c00
	v_cndmask_b32_e32 v7, 0x7c00, v7, vcc_lo
	v_cmp_ne_u32_e32 vcc_lo, 0, v0
	global_store_dword v[15:16], v17, off
	v_lshrrev_b32_e32 v1, 16, v1
	v_cndmask_b32_e64 v0, 0, 1, vcc_lo
	v_cmp_lt_i32_e32 vcc_lo, 5, v21
	s_waitcnt lgkmcnt(0)
	v_lshrrev_b32_e32 v21, 16, v13
	v_and_or_b32 v0, 0xffe, v22, v0
	s_or_b32 vcc_lo, s0, vcc_lo
	v_sub_nc_u32_e32 v22, 0x3f1, v23
	v_add_co_ci_u32_e32 v19, vcc_lo, 0, v19, vcc_lo
	v_cmp_ne_u32_e32 vcc_lo, 0, v9
	v_or_b32_e32 v24, 0x1000, v0
	v_med3_i32 v22, v22, 0, 13
	v_mul_f16_sdwa v25, v57, v21 dst_sel:DWORD dst_unused:UNUSED_PAD src0_sel:WORD_1 src1_sel:DWORD
	v_and_or_b32 v11, 0x1ff, v12, v11
	v_cndmask_b32_e64 v9, 0, 1, vcc_lo
	v_cmp_eq_u32_e32 vcc_lo, 0x40f, v20
	v_lshrrev_b32_e32 v26, v22, v24
	v_fmac_f16_e32 v25, v57, v13
	v_mul_f16_sdwa v13, v57, v13 dst_sel:DWORD dst_unused:UNUSED_PAD src0_sel:WORD_1 src1_sel:DWORD
	v_lshl_or_b32 v9, v9, 9, 0x7c00
	v_cndmask_b32_e32 v7, v7, v3, vcc_lo
	v_cmp_gt_i32_e32 vcc_lo, 31, v18
	v_cvt_f32_f16_e32 v20, v25
	v_fma_f16 v13, v57, v21, -v13
	s_mul_i32 s0, s13, 0xfffffbc0
	v_cndmask_b32_e32 v3, 0x7c00, v19, vcc_lo
	v_lshlrev_b32_e32 v19, v22, v26
	v_cmp_eq_u32_e32 vcc_lo, 0x40f, v18
	v_lshrrev_b32_e32 v22, 16, v4
	v_cvt_f32_f16_e32 v13, v13
	s_sub_i32 s2, s0, s12
	v_cndmask_b32_e32 v9, v3, v9, vcc_lo
	v_cmp_ne_u32_e32 vcc_lo, v19, v24
	v_cvt_f64_f32_e32 v[3:4], v20
	v_lshrrev_b32_e32 v19, 8, v12
	v_bfe_u32 v20, v12, 20, 11
	v_and_or_b32 v7, 0x8000, v22, v7
	v_cndmask_b32_e64 v18, 0, 1, vcc_lo
	v_cmp_ne_u32_e32 vcc_lo, 0, v11
	v_add_nc_u32_e32 v22, 0xfffffc10, v23
	v_and_or_b32 v24, 0x8000, v10, v9
	v_and_b32_e32 v7, 0xffff, v7
	v_or_b32_e32 v18, v26, v18
	v_cndmask_b32_e64 v11, 0, 1, vcc_lo
	v_lshl_or_b32 v23, v22, 12, v0
	v_cmp_gt_i32_e32 vcc_lo, 1, v22
	v_lshl_or_b32 v7, v24, 16, v7
	v_and_or_b32 v11, 0xffe, v19, v11
	v_sub_nc_u32_e32 v19, 0x3f1, v20
	v_cndmask_b32_e32 v23, v23, v18, vcc_lo
	v_mad_u64_u32 v[17:18], null, 0xfffffbc0, s12, v[15:16]
	v_or_b32_e32 v21, 0x1000, v11
	v_med3_i32 v19, v19, 0, 13
	v_mul_f64 v[9:10], v[3:4], s[14:15]
	v_cvt_f64_f32_e32 v[3:4], v13
	v_lshrrev_b32_e32 v15, 2, v23
	v_add_nc_u32_e32 v16, 0xfffffc10, v20
	v_lshrrev_b32_e32 v25, v19, v21
	v_add_nc_u32_e32 v18, s2, v18
	v_lshlrev_b32_e32 v13, v19, v25
	v_and_b32_e32 v19, 7, v23
	global_store_dword v[17:18], v7, off
	v_cmp_ne_u32_e64 s1, v13, v21
	v_cmp_lt_i32_e32 vcc_lo, 5, v19
	v_cmp_eq_u32_e64 s0, 3, v19
	v_lshl_or_b32 v21, v16, 12, v11
	v_cndmask_b32_e64 v13, 0, 1, s1
	s_or_b32 vcc_lo, s0, vcc_lo
	v_and_or_b32 v9, 0x1ff, v10, v9
	v_add_co_ci_u32_e32 v15, vcc_lo, 0, v15, vcc_lo
	v_cmp_ne_u32_e32 vcc_lo, 0, v0
	v_or_b32_e32 v13, v25, v13
	v_mul_f64 v[19:20], v[3:4], s[14:15]
	v_cndmask_b32_e64 v0, 0, 1, vcc_lo
	v_cmp_gt_i32_e32 vcc_lo, 31, v22
	v_lshl_or_b32 v0, v0, 9, 0x7c00
	v_cndmask_b32_e32 v3, 0x7c00, v15, vcc_lo
	v_cmp_gt_i32_e32 vcc_lo, 1, v16
	v_lshrrev_b32_e32 v15, 8, v10
	v_cndmask_b32_e32 v4, v21, v13, vcc_lo
	v_cmp_ne_u32_e32 vcc_lo, 0, v9
	v_lshrrev_b32_e32 v13, 16, v14
	v_bfe_u32 v21, v10, 20, 11
	v_lshrrev_b32_e32 v10, 16, v10
	v_cndmask_b32_e64 v9, 0, 1, vcc_lo
	v_cmp_eq_u32_e32 vcc_lo, 0x40f, v22
	v_and_b32_e32 v22, 7, v4
	v_lshrrev_b32_e32 v4, 2, v4
	v_and_or_b32 v19, 0x1ff, v20, v19
	v_and_or_b32 v9, 0xffe, v15, v9
	v_cndmask_b32_e32 v0, v3, v0, vcc_lo
	v_mul_f16_sdwa v3, v56, v13 dst_sel:DWORD dst_unused:UNUSED_PAD src0_sel:WORD_1 src1_sel:DWORD
	v_sub_nc_u32_e32 v15, 0x3f1, v21
	v_cmp_lt_i32_e32 vcc_lo, 5, v22
	v_cmp_eq_u32_e64 s0, 3, v22
	v_or_b32_e32 v23, 0x1000, v9
	v_fmac_f16_e32 v3, v56, v14
	v_med3_i32 v15, v15, 0, 13
	v_and_or_b32 v22, 0x8000, v1, v0
	s_or_b32 vcc_lo, s0, vcc_lo
	v_bfe_u32 v25, v20, 20, 11
	v_cvt_f32_f16_e32 v3, v3
	v_lshrrev_b32_e32 v24, v15, v23
	v_add_nc_u32_e32 v21, 0xfffffc10, v21
	v_mul_f16_sdwa v14, v56, v14 dst_sel:DWORD dst_unused:UNUSED_PAD src0_sel:WORD_1 src1_sel:DWORD
	v_and_b32_e32 v22, 0xffff, v22
	v_cvt_f64_f32_e32 v[0:1], v3
	v_add_co_ci_u32_e32 v3, vcc_lo, 0, v4, vcc_lo
	v_cmp_ne_u32_e32 vcc_lo, 0, v19
	v_lshrrev_b32_e32 v19, 8, v20
	v_lshlrev_b32_e32 v15, v15, v24
	v_cndmask_b32_e64 v4, 0, 1, vcc_lo
	v_cmp_ne_u32_e32 vcc_lo, 0, v11
	v_and_or_b32 v19, 0xffe, v19, v4
	v_cndmask_b32_e64 v11, 0, 1, vcc_lo
	v_sub_nc_u32_e32 v4, 0x3f1, v25
	v_cmp_ne_u32_e32 vcc_lo, v15, v23
	v_or_b32_e32 v23, 0x1000, v19
	v_lshl_or_b32 v11, v11, 9, 0x7c00
	v_med3_i32 v4, v4, 0, 13
	v_cndmask_b32_e64 v15, 0, 1, vcc_lo
	v_cmp_gt_i32_e32 vcc_lo, 31, v16
	v_mul_f64 v[0:1], v[0:1], s[14:15]
	v_lshrrev_b32_e32 v26, v4, v23
	v_or_b32_e32 v15, v24, v15
	v_cndmask_b32_e32 v3, 0x7c00, v3, vcc_lo
	v_lshl_or_b32 v24, v21, 12, v9
	v_cmp_gt_i32_e32 vcc_lo, 1, v21
	v_lshlrev_b32_e32 v4, v4, v26
	v_cndmask_b32_e32 v15, v24, v15, vcc_lo
	v_cmp_eq_u32_e32 vcc_lo, 0x40f, v16
	v_cmp_ne_u32_e64 s0, v4, v23
	v_cndmask_b32_e32 v3, v3, v11, vcc_lo
	v_lshrrev_b32_e32 v11, 16, v12
	v_fma_f16 v12, v56, v13, -v14
	v_and_b32_e32 v13, 7, v15
	v_add_nc_u32_e32 v14, 0xfffffc10, v25
	v_and_or_b32 v0, 0x1ff, v1, v0
	v_and_or_b32 v11, 0x8000, v11, v3
	v_cvt_f32_f16_e32 v3, v12
	v_cmp_lt_i32_e32 vcc_lo, 5, v13
	v_cndmask_b32_e64 v12, 0, 1, s0
	v_cmp_eq_u32_e64 s0, 3, v13
	v_lshrrev_b32_e32 v13, 2, v15
	v_cvt_f64_f32_e32 v[3:4], v3
	v_lshl_or_b32 v15, v14, 12, v19
	v_or_b32_e32 v12, v26, v12
	s_or_b32 vcc_lo, s0, vcc_lo
	v_lshrrev_b32_e32 v16, 8, v1
	v_add_co_ci_u32_e32 v13, vcc_lo, 0, v13, vcc_lo
	v_cmp_ne_u32_e32 vcc_lo, 0, v9
	v_bfe_u32 v23, v1, 20, 11
	v_lshrrev_b32_e32 v1, 16, v1
	v_cndmask_b32_e64 v9, 0, 1, vcc_lo
	v_cmp_gt_i32_e32 vcc_lo, 1, v14
	v_lshl_or_b32 v9, v9, 9, 0x7c00
	v_cndmask_b32_e32 v12, v15, v12, vcc_lo
	v_cmp_gt_i32_e32 vcc_lo, 31, v21
	v_mul_f64 v[3:4], v[3:4], s[14:15]
	v_and_b32_e32 v15, 7, v12
	v_cndmask_b32_e32 v13, 0x7c00, v13, vcc_lo
	v_cmp_ne_u32_e32 vcc_lo, 0, v0
	v_cmp_eq_u32_e64 s0, 3, v15
	v_cndmask_b32_e64 v0, 0, 1, vcc_lo
	v_cmp_eq_u32_e32 vcc_lo, 0x40f, v21
	v_lshrrev_b32_e32 v21, 16, v8
	v_cndmask_b32_e32 v7, v13, v9, vcc_lo
	v_cmp_lt_i32_e32 vcc_lo, 5, v15
	v_lshrrev_b32_e32 v9, 2, v12
	v_and_or_b32 v13, 0xffe, v16, v0
	v_sub_nc_u32_e32 v0, 0x3f1, v23
	v_mul_f16_sdwa v15, v55, v21 dst_sel:DWORD dst_unused:UNUSED_PAD src0_sel:WORD_1 src1_sel:DWORD
	s_or_b32 vcc_lo, s0, vcc_lo
	v_and_or_b32 v7, 0x8000, v10, v7
	v_add_co_ci_u32_e32 v9, vcc_lo, 0, v9, vcc_lo
	v_cmp_ne_u32_e32 vcc_lo, 0, v19
	v_or_b32_e32 v12, 0x1000, v13
	v_med3_i32 v0, v0, 0, 13
	v_fmac_f16_e32 v15, v55, v8
	v_and_or_b32 v3, 0x1ff, v4, v3
	v_cndmask_b32_e64 v16, 0, 1, vcc_lo
	v_cmp_gt_i32_e32 vcc_lo, 31, v14
	v_lshrrev_b32_e32 v19, v0, v12
	v_cndmask_b32_e32 v24, 0x7c00, v9, vcc_lo
	v_cvt_f32_f16_e32 v9, v15
	v_lshl_or_b32 v15, v16, 9, 0x7c00
	v_cmp_eq_u32_e32 vcc_lo, 0x40f, v14
	v_lshlrev_b32_e32 v0, v0, v19
	v_add_nc_u32_e32 v16, 0xfffffc10, v23
	v_cvt_f64_f32_e32 v[9:10], v9
	v_cndmask_b32_e32 v14, v24, v15, vcc_lo
	v_cmp_ne_u32_e32 vcc_lo, 0, v3
	v_lshrrev_b32_e32 v15, 8, v4
	v_bfe_u32 v24, v4, 20, 11
	v_lshrrev_b32_e32 v4, 16, v4
	v_cndmask_b32_e64 v3, 0, 1, vcc_lo
	v_cmp_ne_u32_e32 vcc_lo, v0, v12
	v_lshrrev_b32_e32 v12, 16, v20
	v_lshl_or_b32 v20, v16, 12, v13
	v_and_or_b32 v15, 0xffe, v15, v3
	v_cndmask_b32_e64 v0, 0, 1, vcc_lo
	v_sub_nc_u32_e32 v3, 0x3f1, v24
	v_cmp_gt_i32_e32 vcc_lo, 1, v16
	v_and_or_b32 v14, 0x8000, v12, v14
	v_or_b32_e32 v23, 0x1000, v15
	v_or_b32_e32 v19, v19, v0
	v_med3_i32 v3, v3, 0, 13
	v_lshl_or_b32 v0, v11, 16, v22
	v_mul_f16_sdwa v11, v55, v8 dst_sel:DWORD dst_unused:UNUSED_PAD src0_sel:WORD_1 src1_sel:DWORD
	v_and_b32_e32 v22, 0xffff, v7
	v_cndmask_b32_e32 v19, v20, v19, vcc_lo
	v_lshrrev_b32_e32 v20, v3, v23
	v_mul_f64 v[7:8], v[9:10], s[14:15]
	v_fma_f16 v10, v55, v21, -v11
	v_add_co_u32 v11, vcc_lo, v17, s16
	v_and_b32_e32 v9, 7, v19
	v_lshlrev_b32_e32 v3, v3, v20
	v_add_co_ci_u32_e32 v12, vcc_lo, s17, v18, vcc_lo
	v_lshl_or_b32 v17, v14, 16, v22
	v_cmp_lt_i32_e32 vcc_lo, 5, v9
	v_cmp_eq_u32_e64 s0, 3, v9
	v_lshrrev_b32_e32 v14, 2, v19
	v_cmp_ne_u32_e64 s1, v3, v23
	v_cvt_f32_f16_e32 v10, v10
	v_add_nc_u32_e32 v18, 0xfffffc10, v24
	s_or_b32 vcc_lo, s0, vcc_lo
	global_store_dword v[11:12], v0, off
	v_add_co_ci_u32_e32 v14, vcc_lo, 0, v14, vcc_lo
	v_cndmask_b32_e64 v3, 0, 1, s1
	v_cmp_ne_u32_e32 vcc_lo, 0, v13
	v_cvt_f64_f32_e32 v[9:10], v10
	v_lshl_or_b32 v19, v18, 12, v15
	v_bfe_u32 v25, v8, 20, 11
	v_or_b32_e32 v3, v20, v3
	v_cndmask_b32_e64 v13, 0, 1, vcc_lo
	v_cmp_gt_i32_e32 vcc_lo, 1, v18
	ds_read_b32 v20, v54 offset:704
	v_lshrrev_b32_e32 v24, 8, v8
	v_lshl_or_b32 v21, v13, 9, 0x7c00
	v_cndmask_b32_e32 v19, v19, v3, vcc_lo
	v_and_or_b32 v3, 0x1ff, v8, v7
	v_cmp_gt_i32_e32 vcc_lo, 31, v16
	v_lshrrev_b32_e32 v8, 16, v8
	v_and_b32_e32 v22, 7, v19
	v_lshrrev_b32_e32 v19, 2, v19
	v_cndmask_b32_e32 v7, 0x7c00, v14, vcc_lo
	v_cmp_ne_u32_e32 vcc_lo, 0, v3
	ds_read_b32 v3, v53 offset:1216
	v_cmp_eq_u32_e64 s0, 3, v22
	v_mul_f64 v[9:10], v[9:10], s[14:15]
	v_cndmask_b32_e64 v23, 0, 1, vcc_lo
	v_add_co_u32 v13, vcc_lo, v11, s16
	v_add_co_ci_u32_e32 v14, vcc_lo, s17, v12, vcc_lo
	v_cmp_eq_u32_e32 vcc_lo, 0x40f, v16
	s_waitcnt lgkmcnt(1)
	v_lshrrev_b32_e32 v26, 16, v20
	v_sub_nc_u32_e32 v16, 0x3f1, v25
	global_store_dword v[13:14], v17, off
	v_cndmask_b32_e32 v7, v7, v21, vcc_lo
	v_cmp_lt_i32_e32 vcc_lo, 5, v22
	v_and_or_b32 v21, 0xffe, v24, v23
	v_mul_f16_sdwa v23, v52, v26 dst_sel:DWORD dst_unused:UNUSED_PAD src0_sel:WORD_1 src1_sel:DWORD
	v_med3_i32 v24, v16, 0, 13
	v_and_or_b32 v1, 0x8000, v1, v7
	s_or_b32 vcc_lo, s0, vcc_lo
	v_or_b32_e32 v22, 0x1000, v21
	v_add_co_ci_u32_e32 v16, vcc_lo, 0, v19, vcc_lo
	v_fmac_f16_e32 v23, v52, v20
	v_cmp_ne_u32_e32 vcc_lo, 0, v15
	v_lshrrev_b32_e32 v27, v24, v22
	v_and_or_b32 v9, 0x1ff, v10, v9
	v_and_b32_e32 v1, 0xffff, v1
	v_cvt_f32_f16_e32 v19, v23
	v_cndmask_b32_e64 v23, 0, 1, vcc_lo
	v_cmp_gt_i32_e32 vcc_lo, 31, v18
	v_cndmask_b32_e32 v28, 0x7c00, v16, vcc_lo
	v_cvt_f64_f32_e32 v[15:16], v19
	v_lshl_or_b32 v19, v23, 9, 0x7c00
	v_cmp_eq_u32_e32 vcc_lo, 0x40f, v18
	v_lshlrev_b32_e32 v23, v24, v27
	v_lshrrev_b32_e32 v18, 8, v10
	v_cndmask_b32_e32 v7, v28, v19, vcc_lo
	v_cmp_ne_u32_e32 vcc_lo, 0, v9
	v_bfe_u32 v19, v10, 20, 11
	v_lshrrev_b32_e32 v10, 16, v10
	v_and_or_b32 v4, 0x8000, v4, v7
	v_cndmask_b32_e64 v9, 0, 1, vcc_lo
	v_cmp_ne_u32_e32 vcc_lo, v23, v22
	v_add_nc_u32_e32 v23, 0xfffffc10, v25
	v_mul_f16_sdwa v7, v52, v20 dst_sel:DWORD dst_unused:UNUSED_PAD src0_sel:WORD_1 src1_sel:DWORD
	v_lshl_or_b32 v4, v4, 16, v1
	v_and_or_b32 v9, 0xffe, v18, v9
	v_cndmask_b32_e64 v22, 0, 1, vcc_lo
	v_sub_nc_u32_e32 v18, 0x3f1, v19
	v_lshl_or_b32 v24, v23, 12, v21
	v_cmp_gt_i32_e32 vcc_lo, 1, v23
	v_or_b32_e32 v25, 0x1000, v9
	v_or_b32_e32 v22, v27, v22
	v_med3_i32 v18, v18, 0, 13
	v_fma_f16 v0, v52, v26, -v7
	v_mul_f64 v[15:16], v[15:16], s[14:15]
	v_add_nc_u32_e32 v17, 0xfffffc10, v19
	v_cndmask_b32_e32 v20, v24, v22, vcc_lo
	v_lshrrev_b32_e32 v22, v18, v25
	v_cvt_f32_f16_e32 v0, v0
	v_lshl_or_b32 v19, v17, 12, v9
	v_and_b32_e32 v7, 7, v20
	v_lshlrev_b32_e32 v1, v18, v22
	v_cmp_lt_i32_e32 vcc_lo, 5, v7
	v_cmp_eq_u32_e64 s0, 3, v7
	v_lshrrev_b32_e32 v7, 2, v20
	v_cmp_ne_u32_e64 s1, v1, v25
	v_cvt_f64_f32_e32 v[0:1], v0
	s_or_b32 vcc_lo, s0, vcc_lo
	v_add_co_ci_u32_e32 v7, vcc_lo, 0, v7, vcc_lo
	v_cndmask_b32_e64 v11, 0, 1, s1
	v_cmp_ne_u32_e32 vcc_lo, 0, v21
	v_and_or_b32 v15, 0x1ff, v16, v15
	v_lshrrev_b32_e32 v21, 16, v2
	v_cmp_eq_u32_e64 s1, 0x40f, v23
	v_or_b32_e32 v18, v22, v11
	v_cndmask_b32_e64 v20, 0, 1, vcc_lo
	v_add_co_u32 v11, vcc_lo, v13, s16
	v_add_co_ci_u32_e32 v12, vcc_lo, s17, v14, vcc_lo
	v_cmp_gt_i32_e32 vcc_lo, 1, v17
	v_lshl_or_b32 v20, v20, 9, 0x7c00
	v_mul_f16_sdwa v22, v51, v21 dst_sel:DWORD dst_unused:UNUSED_PAD src0_sel:WORD_1 src1_sel:DWORD
	global_store_dword v[11:12], v4, off
	v_cndmask_b32_e32 v13, v19, v18, vcc_lo
	v_cmp_gt_i32_e32 vcc_lo, 31, v23
	v_bfe_u32 v18, v16, 20, 11
	v_mul_f64 v[0:1], v[0:1], s[14:15]
	v_fmac_f16_e32 v22, v51, v2
	v_and_b32_e32 v19, 7, v13
	v_cndmask_b32_e32 v7, 0x7c00, v7, vcc_lo
	v_cmp_ne_u32_e32 vcc_lo, 0, v15
	v_lshrrev_b32_e32 v15, 8, v16
	v_lshrrev_b32_e32 v13, 2, v13
	v_cmp_eq_u32_e64 s0, 3, v19
	v_cndmask_b32_e64 v7, v7, v20, s1
	v_cndmask_b32_e64 v14, 0, 1, vcc_lo
	v_cmp_lt_i32_e32 vcc_lo, 5, v19
	v_cvt_f32_f16_e32 v22, v22
	v_mul_f16_sdwa v2, v51, v2 dst_sel:DWORD dst_unused:UNUSED_PAD src0_sel:WORD_1 src1_sel:DWORD
	v_lshrrev_b32_e32 v16, 16, v16
	v_and_or_b32 v15, 0xffe, v15, v14
	v_sub_nc_u32_e32 v14, 0x3f1, v18
	s_or_b32 vcc_lo, s0, vcc_lo
	v_add_nc_u32_e32 v18, 0xfffffc10, v18
	v_add_co_ci_u32_e32 v13, vcc_lo, 0, v13, vcc_lo
	v_or_b32_e32 v19, 0x1000, v15
	v_med3_i32 v14, v14, 0, 13
	v_cmp_ne_u32_e32 vcc_lo, 0, v9
	v_and_or_b32 v0, 0x1ff, v1, v0
	v_fma_f16 v2, v51, v21, -v2
	v_lshrrev_b32_e32 v21, 16, v5
	v_lshrrev_b32_e32 v20, v14, v19
	v_cndmask_b32_e64 v9, 0, 1, vcc_lo
	v_cmp_gt_i32_e32 vcc_lo, 31, v17
	v_cvt_f32_f16_e32 v2, v2
	v_lshlrev_b32_e32 v23, v14, v20
	v_lshl_or_b32 v9, v9, 9, 0x7c00
	v_cndmask_b32_e32 v24, 0x7c00, v13, vcc_lo
	v_cvt_f64_f32_e32 v[13:14], v22
	v_lshrrev_b32_e32 v22, 8, v1
	v_cmp_ne_u32_e32 vcc_lo, v23, v19
	v_bfe_u32 v23, v1, 20, 11
	v_lshrrev_b32_e32 v1, 16, v1
	v_cndmask_b32_e64 v19, 0, 1, vcc_lo
	v_cmp_ne_u32_e32 vcc_lo, 0, v0
	v_or_b32_e32 v19, v20, v19
	v_cndmask_b32_e64 v0, 0, 1, vcc_lo
	v_cmp_eq_u32_e32 vcc_lo, 0x40f, v17
	v_lshl_or_b32 v20, v18, 12, v15
	v_and_or_b32 v0, 0xffe, v22, v0
	v_sub_nc_u32_e32 v22, 0x3f1, v23
	v_cndmask_b32_e32 v9, v24, v9, vcc_lo
	v_cmp_gt_i32_e32 vcc_lo, 1, v18
	v_and_or_b32 v9, 0x8000, v10, v9
	v_cndmask_b32_e32 v17, v20, v19, vcc_lo
	v_or_b32_e32 v19, 0x1000, v0
	v_med3_i32 v20, v22, 0, 13
	v_and_or_b32 v22, 0x8000, v8, v7
	v_mul_f64 v[7:8], v[13:14], s[14:15]
	v_and_b32_e32 v10, 7, v17
	v_lshrrev_b32_e32 v13, v20, v19
	v_and_b32_e32 v14, 0xffff, v22
	v_mul_f16_sdwa v22, v50, v21 dst_sel:DWORD dst_unused:UNUSED_PAD src0_sel:WORD_1 src1_sel:DWORD
	v_cmp_lt_i32_e32 vcc_lo, 5, v10
	v_cmp_eq_u32_e64 s0, 3, v10
	v_lshlrev_b32_e32 v4, v20, v13
	v_lshl_or_b32 v20, v9, 16, v14
	v_lshrrev_b32_e32 v14, 2, v17
	v_cvt_f64_f32_e32 v[9:10], v2
	s_or_b32 vcc_lo, s0, vcc_lo
	v_cmp_ne_u32_e64 s1, v4, v19
	v_add_nc_u32_e32 v17, 0xfffffc10, v23
	v_add_co_ci_u32_e32 v2, vcc_lo, 0, v14, vcc_lo
	v_cmp_ne_u32_e32 vcc_lo, 0, v15
	v_cndmask_b32_e64 v4, 0, 1, s1
	v_fmac_f16_e32 v22, v50, v5
	v_mul_f16_sdwa v5, v50, v5 dst_sel:DWORD dst_unused:UNUSED_PAD src0_sel:WORD_1 src1_sel:DWORD
	v_and_or_b32 v7, 0x1ff, v8, v7
	v_or_b32_e32 v4, v13, v4
	v_lshl_or_b32 v13, v17, 12, v0
	v_cndmask_b32_e64 v14, 0, 1, vcc_lo
	v_cmp_gt_i32_e32 vcc_lo, 1, v17
	v_bfe_u32 v15, v8, 20, 11
	v_fma_f16 v5, v50, v21, -v5
	v_lshrrev_b32_e32 v21, 16, v6
	v_cndmask_b32_e32 v4, v13, v4, vcc_lo
	v_cmp_ne_u32_e32 vcc_lo, 0, v7
	v_lshrrev_b32_e32 v13, 8, v8
	v_mul_f64 v[9:10], v[9:10], s[14:15]
	v_cvt_f32_f16_e32 v5, v5
	v_and_b32_e32 v19, 7, v4
	v_cndmask_b32_e64 v7, 0, 1, vcc_lo
	v_cmp_gt_i32_e32 vcc_lo, 31, v18
	v_lshrrev_b32_e32 v4, 2, v4
	v_cmp_eq_u32_e64 s0, 3, v19
	v_and_or_b32 v7, 0xffe, v13, v7
	v_sub_nc_u32_e32 v13, 0x3f1, v15
	v_cndmask_b32_e32 v2, 0x7c00, v2, vcc_lo
	v_cmp_lt_i32_e32 vcc_lo, 5, v19
	v_lshl_or_b32 v19, v14, 9, 0x7c00
	v_or_b32_e32 v23, 0x1000, v7
	v_med3_i32 v13, v13, 0, 13
	v_cvt_f32_f16_e32 v14, v22
	s_or_b32 vcc_lo, s0, vcc_lo
	v_add_nc_u32_e32 v15, 0xfffffc10, v15
	v_add_co_ci_u32_e32 v4, vcc_lo, 0, v4, vcc_lo
	v_lshrrev_b32_e32 v24, v13, v23
	v_add_co_u32 v11, vcc_lo, v11, s16
	v_add_co_ci_u32_e32 v12, vcc_lo, s17, v12, vcc_lo
	v_cmp_ne_u32_e32 vcc_lo, 0, v0
	v_lshlrev_b32_e32 v22, v13, v24
	v_cvt_f64_f32_e32 v[13:14], v14
	v_and_or_b32 v9, 0x1ff, v10, v9
	global_store_dword v[11:12], v20, off
	v_cndmask_b32_e64 v0, 0, 1, vcc_lo
	v_cmp_eq_u32_e32 vcc_lo, 0x40f, v18
	v_lshl_or_b32 v0, v0, 9, 0x7c00
	v_cndmask_b32_e32 v2, v2, v19, vcc_lo
	v_cmp_gt_i32_e32 vcc_lo, 31, v17
	v_lshl_or_b32 v19, v15, 12, v7
	v_and_or_b32 v2, 0x8000, v16, v2
	v_cndmask_b32_e32 v4, 0x7c00, v4, vcc_lo
	v_cmp_ne_u32_e32 vcc_lo, v22, v23
	v_mul_f16_sdwa v22, v49, v21 dst_sel:DWORD dst_unused:UNUSED_PAD src0_sel:WORD_1 src1_sel:DWORD
	v_and_b32_e32 v2, 0xffff, v2
	v_cndmask_b32_e64 v18, 0, 1, vcc_lo
	v_cmp_eq_u32_e32 vcc_lo, 0x40f, v17
	v_mul_f64 v[13:14], v[13:14], s[14:15]
	v_lshrrev_b32_e32 v17, 8, v10
	v_fmac_f16_e32 v22, v49, v6
	v_mul_f16_sdwa v6, v49, v6 dst_sel:DWORD dst_unused:UNUSED_PAD src0_sel:WORD_1 src1_sel:DWORD
	v_cndmask_b32_e32 v0, v4, v0, vcc_lo
	v_cmp_ne_u32_e32 vcc_lo, 0, v9
	v_or_b32_e32 v4, v24, v18
	v_bfe_u32 v18, v10, 20, 11
	v_lshrrev_b32_e32 v10, 16, v10
	v_and_or_b32 v0, 0x8000, v1, v0
	v_cndmask_b32_e64 v9, 0, 1, vcc_lo
	v_cmp_gt_i32_e32 vcc_lo, 1, v15
	v_sub_nc_u32_e32 v16, 0x3f1, v18
	v_fma_f16 v6, v49, v21, -v6
	v_lshl_or_b32 v2, v0, 16, v2
	v_and_or_b32 v9, 0xffe, v17, v9
	v_cndmask_b32_e32 v4, v19, v4, vcc_lo
	v_med3_i32 v1, v16, 0, 13
	v_add_co_u32 v0, s1, v11, s16
	v_or_b32_e32 v17, 0x1000, v9
	v_and_b32_e32 v16, 7, v4
	v_and_or_b32 v13, 0x1ff, v14, v13
	v_lshrrev_b32_e32 v11, 2, v4
	v_cvt_f64_f32_e32 v[4:5], v5
	v_lshrrev_b32_e32 v19, v1, v17
	v_cmp_lt_i32_e32 vcc_lo, 5, v16
	v_cmp_eq_u32_e64 s0, 3, v16
	v_bfe_u32 v20, v14, 20, 11
	v_cvt_f32_f16_e32 v6, v6
	v_lshlrev_b32_e32 v16, v1, v19
	v_add_co_ci_u32_e64 v1, s1, s17, v12, s1
	v_cmp_ne_u32_e64 s1, 0, v13
	v_lshrrev_b32_e32 v13, 8, v14
	s_or_b32 vcc_lo, s0, vcc_lo
	v_lshrrev_b32_e32 v14, 16, v14
	v_add_co_ci_u32_e32 v11, vcc_lo, 0, v11, vcc_lo
	v_cndmask_b32_e64 v12, 0, 1, s1
	v_cmp_ne_u32_e64 s1, v16, v17
	v_add_nc_u32_e32 v17, 0xfffffc10, v18
	v_and_or_b32 v13, 0xffe, v13, v12
	v_cndmask_b32_e64 v16, 0, 1, s1
	v_lshl_or_b32 v18, v17, 12, v9
	v_cmp_gt_i32_e32 vcc_lo, 1, v17
	v_sub_nc_u32_e32 v12, 0x3f1, v20
	v_mul_f64 v[4:5], v[4:5], s[14:15]
	v_or_b32_e32 v16, v19, v16
	v_or_b32_e32 v19, 0x1000, v13
	v_cmp_eq_u32_e64 s1, 0x40f, v15
	v_med3_i32 v12, v12, 0, 13
	v_add_nc_u32_e32 v20, 0xfffffc10, v20
	v_cndmask_b32_e32 v16, v18, v16, vcc_lo
	v_cmp_ne_u32_e32 vcc_lo, 0, v7
	v_lshrrev_b32_e32 v18, v12, v19
	v_and_b32_e32 v23, 7, v16
	v_cndmask_b32_e64 v7, 0, 1, vcc_lo
	v_cmp_gt_i32_e32 vcc_lo, 31, v15
	v_lshlrev_b32_e32 v12, v12, v18
	v_lshrrev_b32_e32 v16, 2, v16
	v_cmp_eq_u32_e64 s0, 3, v23
	v_lshl_or_b32 v7, v7, 9, 0x7c00
	v_cndmask_b32_e32 v11, 0x7c00, v11, vcc_lo
	v_cmp_lt_i32_e32 vcc_lo, 5, v23
	v_and_or_b32 v4, 0x1ff, v5, v4
	v_cndmask_b32_e64 v15, v11, v7, s1
	v_cvt_f32_f16_e32 v7, v22
	v_cmp_ne_u32_e64 s1, v12, v19
	s_or_b32 vcc_lo, s0, vcc_lo
	v_cvt_f64_f32_e32 v[11:12], v7
	v_add_co_ci_u32_e32 v7, vcc_lo, 0, v16, vcc_lo
	v_cndmask_b32_e64 v19, 0, 1, s1
	v_cmp_ne_u32_e32 vcc_lo, 0, v9
	v_or_b32_e32 v16, v18, v19
	v_lshl_or_b32 v18, v20, 12, v13
	v_lshrrev_b32_e32 v19, 16, v8
	v_cndmask_b32_e64 v8, 0, 1, vcc_lo
	v_cmp_gt_i32_e32 vcc_lo, 1, v20
	v_and_or_b32 v15, 0x8000, v19, v15
	v_lshl_or_b32 v23, v8, 9, 0x7c00
	v_cndmask_b32_e32 v9, v18, v16, vcc_lo
	v_cmp_ne_u32_e32 vcc_lo, 0, v4
	v_lshrrev_b32_e32 v16, 8, v5
	v_bfe_u32 v18, v5, 20, 11
	v_lshrrev_b32_e32 v5, 16, v5
	v_and_b32_e32 v24, 7, v9
	v_cndmask_b32_e64 v4, 0, 1, vcc_lo
	v_cmp_gt_i32_e32 vcc_lo, 31, v17
	v_lshrrev_b32_e32 v9, 2, v9
	v_cmp_eq_u32_e64 s0, 3, v24
	v_and_or_b32 v4, 0xffe, v16, v4
	v_sub_nc_u32_e32 v16, 0x3f1, v18
	v_cndmask_b32_e32 v22, 0x7c00, v7, vcc_lo
	v_cmp_eq_u32_e32 vcc_lo, 0x40f, v17
	v_mul_f64 v[7:8], v[11:12], s[14:15]
	v_or_b32_e32 v12, 0x1000, v4
	v_med3_i32 v16, v16, 0, 13
	v_cndmask_b32_e32 v11, v22, v23, vcc_lo
	v_cmp_lt_i32_e32 vcc_lo, 5, v24
	v_lshrrev_b32_e32 v17, v16, v12
	v_and_or_b32 v10, 0x8000, v10, v11
	s_or_b32 vcc_lo, s0, vcc_lo
	v_and_b32_e32 v11, 0xffff, v15
	v_add_co_ci_u32_e32 v9, vcc_lo, 0, v9, vcc_lo
	v_lshlrev_b32_e32 v15, v16, v17
	v_cmp_ne_u32_e32 vcc_lo, 0, v13
	v_lshl_or_b32 v16, v10, 16, v11
	v_cndmask_b32_e64 v13, 0, 1, vcc_lo
	v_cmp_ne_u32_e32 vcc_lo, v15, v12
	v_and_or_b32 v10, 0x1ff, v8, v7
	v_add_nc_u32_e32 v15, 0xfffffc10, v18
	v_lshrrev_b32_e32 v18, 8, v8
	v_bfe_u32 v19, v8, 20, 11
	v_cndmask_b32_e64 v11, 0, 1, vcc_lo
	v_cmp_gt_i32_e32 vcc_lo, 31, v20
	v_cvt_f64_f32_e32 v[6:7], v6
	s_waitcnt lgkmcnt(0)
	v_lshrrev_b32_e32 v12, 16, v3
	v_lshl_or_b32 v13, v13, 9, 0x7c00
	v_or_b32_e32 v11, v17, v11
	v_cndmask_b32_e32 v9, 0x7c00, v9, vcc_lo
	v_cmp_ne_u32_e32 vcc_lo, 0, v10
	v_lshl_or_b32 v17, v15, 12, v4
	v_mul_f16_sdwa v21, v48, v12 dst_sel:DWORD dst_unused:UNUSED_PAD src0_sel:WORD_1 src1_sel:DWORD
	v_lshrrev_b32_e32 v8, 16, v8
	v_cndmask_b32_e64 v10, 0, 1, vcc_lo
	v_cmp_gt_i32_e32 vcc_lo, 1, v15
	v_fmac_f16_e32 v21, v48, v3
	v_mul_f16_sdwa v3, v48, v3 dst_sel:DWORD dst_unused:UNUSED_PAD src0_sel:WORD_1 src1_sel:DWORD
	v_and_or_b32 v18, 0xffe, v18, v10
	v_sub_nc_u32_e32 v10, 0x3f1, v19
	v_cndmask_b32_e32 v11, v17, v11, vcc_lo
	v_cmp_eq_u32_e32 vcc_lo, 0x40f, v20
	v_fma_f16 v3, v48, v12, -v3
	v_or_b32_e32 v17, 0x1000, v18
	v_med3_i32 v22, v10, 0, 13
	v_and_b32_e32 v23, 7, v11
	v_cndmask_b32_e32 v13, v9, v13, vcc_lo
	v_cvt_f32_f16_e32 v10, v21
	v_lshrrev_b32_e32 v11, 2, v11
	v_lshrrev_b32_e32 v20, v22, v17
	v_cmp_lt_i32_e32 vcc_lo, 5, v23
	v_cmp_eq_u32_e64 s0, 3, v23
	v_cvt_f64_f32_e32 v[9:10], v10
	v_mul_f64 v[6:7], v[6:7], s[14:15]
	v_lshlrev_b32_e32 v21, v22, v20
	v_cvt_f32_f16_e32 v3, v3
	s_or_b32 vcc_lo, s0, vcc_lo
	v_and_or_b32 v13, 0x8000, v14, v13
	v_add_co_ci_u32_e32 v11, vcc_lo, 0, v11, vcc_lo
	v_cmp_ne_u32_e32 vcc_lo, v21, v17
	v_add_nc_u32_e32 v17, 0xfffffc10, v19
	v_and_b32_e32 v13, 0xffff, v13
	v_cndmask_b32_e64 v12, 0, 1, vcc_lo
	v_cmp_ne_u32_e32 vcc_lo, 0, v4
	v_lshl_or_b32 v21, v17, 12, v18
	v_cvt_f64_f32_e32 v[3:4], v3
	v_or_b32_e32 v20, v20, v12
	v_cndmask_b32_e64 v19, 0, 1, vcc_lo
	v_cmp_gt_i32_e32 vcc_lo, 31, v15
	v_mul_f64 v[9:10], v[9:10], s[14:15]
	v_and_or_b32 v6, 0x1ff, v7, v6
	v_lshl_or_b32 v19, v19, 9, 0x7c00
	v_cndmask_b32_e32 v22, 0x7c00, v11, vcc_lo
	v_add_co_u32 v11, vcc_lo, v0, s16
	v_add_co_ci_u32_e32 v12, vcc_lo, s17, v1, vcc_lo
	v_cmp_gt_i32_e32 vcc_lo, 1, v17
	v_cndmask_b32_e32 v20, v21, v20, vcc_lo
	v_cmp_eq_u32_e32 vcc_lo, 0x40f, v15
	v_bfe_u32 v21, v7, 20, 11
	v_mul_f64 v[3:4], v[3:4], s[14:15]
	v_cndmask_b32_e32 v15, v22, v19, vcc_lo
	v_cmp_ne_u32_e32 vcc_lo, 0, v6
	v_lshrrev_b32_e32 v19, 8, v7
	v_and_b32_e32 v22, 7, v20
	v_sub_nc_u32_e32 v14, 0x3f1, v21
	v_and_or_b32 v5, 0x8000, v5, v15
	v_cndmask_b32_e64 v6, 0, 1, vcc_lo
	v_and_or_b32 v9, 0x1ff, v10, v9
	v_cmp_lt_i32_e32 vcc_lo, 5, v22
	v_cmp_eq_u32_e64 s0, 3, v22
	v_med3_i32 v14, v14, 0, 13
	v_and_or_b32 v6, 0xffe, v19, v6
	v_lshrrev_b32_e32 v19, 2, v20
	v_lshrrev_b32_e32 v22, 8, v10
	s_or_b32 vcc_lo, s0, vcc_lo
	v_bfe_u32 v23, v10, 20, 11
	v_or_b32_e32 v15, 0x1000, v6
	v_add_co_ci_u32_e32 v19, vcc_lo, 0, v19, vcc_lo
	v_cmp_ne_u32_e32 vcc_lo, 0, v9
	v_and_or_b32 v3, 0x1ff, v4, v3
	v_lshrrev_b32_e32 v20, v14, v15
	v_lshrrev_b32_e32 v24, 8, v4
	v_bfe_u32 v25, v4, 20, 11
	v_cndmask_b32_e64 v9, 0, 1, vcc_lo
	v_cmp_ne_u32_e32 vcc_lo, 0, v18
	v_lshlrev_b32_e32 v14, v14, v20
	v_lshrrev_b32_e32 v7, 16, v7
	v_lshrrev_b32_e32 v10, 16, v10
	v_and_or_b32 v9, 0xffe, v22, v9
	v_cndmask_b32_e64 v18, 0, 1, vcc_lo
	v_cmp_ne_u32_e32 vcc_lo, v14, v15
	v_sub_nc_u32_e32 v22, 0x3f1, v23
	v_add_nc_u32_e32 v15, 0xfffffc10, v21
	v_or_b32_e32 v21, 0x1000, v9
	v_lshl_or_b32 v18, v18, 9, 0x7c00
	v_cndmask_b32_e64 v14, 0, 1, vcc_lo
	v_cmp_gt_i32_e32 vcc_lo, 31, v17
	v_med3_i32 v22, v22, 0, 13
	v_lshl_or_b32 v13, v5, 16, v13
	v_or_b32_e32 v14, v20, v14
	v_cndmask_b32_e32 v19, 0x7c00, v19, vcc_lo
	v_cmp_ne_u32_e32 vcc_lo, 0, v3
	v_lshl_or_b32 v20, v15, 12, v6
	v_lshrrev_b32_e32 v26, v22, v21
	v_cndmask_b32_e64 v3, 0, 1, vcc_lo
	v_cmp_gt_i32_e32 vcc_lo, 1, v15
	v_and_or_b32 v3, 0xffe, v24, v3
	v_sub_nc_u32_e32 v24, 0x3f1, v25
	v_cndmask_b32_e32 v14, v20, v14, vcc_lo
	v_lshlrev_b32_e32 v20, v22, v26
	v_cmp_eq_u32_e32 vcc_lo, 0x40f, v17
	v_or_b32_e32 v22, 0x1000, v3
	v_med3_i32 v24, v24, 0, 13
	v_and_b32_e32 v27, 7, v14
	v_lshrrev_b32_e32 v14, 2, v14
	v_cndmask_b32_e32 v17, v19, v18, vcc_lo
	v_cmp_ne_u32_e32 vcc_lo, v20, v21
	v_add_nc_u32_e32 v19, 0xfffffc10, v23
	v_lshrrev_b32_e32 v20, v24, v22
	v_cmp_eq_u32_e64 s0, 3, v27
	v_and_or_b32 v8, 0x8000, v8, v17
	v_cndmask_b32_e64 v18, 0, 1, vcc_lo
	v_lshl_or_b32 v21, v19, 12, v9
	v_lshlrev_b32_e32 v23, v24, v20
	v_cmp_gt_i32_e64 s1, 1, v19
	v_cmp_lt_i32_e32 vcc_lo, 5, v27
	v_or_b32_e32 v18, v26, v18
	s_or_b32 vcc_lo, s0, vcc_lo
	v_cndmask_b32_e64 v18, v21, v18, s1
	v_cmp_ne_u32_e64 s1, v23, v22
	v_add_nc_u32_e32 v22, 0xfffffc10, v25
	v_add_co_ci_u32_e32 v14, vcc_lo, 0, v14, vcc_lo
	v_and_b32_e32 v23, 7, v18
	v_cndmask_b32_e64 v21, 0, 1, s1
	v_cmp_ne_u32_e32 vcc_lo, 0, v6
	v_cmp_gt_i32_e64 s0, 1, v22
	v_lshrrev_b32_e32 v18, 2, v18
	v_cmp_gt_i32_e64 s1, 31, v15
	v_or_b32_e32 v20, v20, v21
	v_lshl_or_b32 v21, v22, 12, v3
	v_cndmask_b32_e64 v6, 0, 1, vcc_lo
	v_cmp_lt_i32_e32 vcc_lo, 5, v23
	v_cndmask_b32_e64 v14, 0x7c00, v14, s1
	v_cmp_eq_u32_e64 s1, 0x40f, v15
	v_cndmask_b32_e64 v17, v21, v20, s0
	v_cmp_eq_u32_e64 s0, 3, v23
	v_lshl_or_b32 v6, v6, 9, 0x7c00
	v_and_b32_e32 v20, 7, v17
	s_or_b32 vcc_lo, s0, vcc_lo
	v_cndmask_b32_e64 v6, v14, v6, s1
	v_add_co_ci_u32_e32 v18, vcc_lo, 0, v18, vcc_lo
	v_cmp_ne_u32_e32 vcc_lo, 0, v9
	v_cmp_eq_u32_e64 s0, 3, v20
	v_lshrrev_b32_e32 v14, 2, v17
	v_cmp_gt_i32_e64 s1, 31, v19
	v_and_or_b32 v5, 0x8000, v7, v6
	v_cndmask_b32_e64 v9, 0, 1, vcc_lo
	v_cmp_lt_i32_e32 vcc_lo, 5, v20
	v_and_b32_e32 v6, 0xffff, v8
	v_cndmask_b32_e64 v15, 0x7c00, v18, s1
	v_lshl_or_b32 v9, v9, 9, 0x7c00
	s_or_b32 vcc_lo, s0, vcc_lo
	v_add_co_ci_u32_e32 v14, vcc_lo, 0, v14, vcc_lo
	v_cmp_ne_u32_e32 vcc_lo, 0, v3
	v_cndmask_b32_e64 v3, 0, 1, vcc_lo
	v_cmp_eq_u32_e32 vcc_lo, 0x40f, v19
	v_lshl_or_b32 v3, v3, 9, 0x7c00
	v_cndmask_b32_e32 v9, v15, v9, vcc_lo
	v_cmp_gt_i32_e32 vcc_lo, 31, v22
	v_and_or_b32 v7, 0x8000, v10, v9
	v_cndmask_b32_e32 v14, 0x7c00, v14, vcc_lo
	v_cmp_eq_u32_e32 vcc_lo, 0x40f, v22
	v_lshrrev_b32_e32 v9, 16, v4
	v_lshl_or_b32 v10, v5, 16, v6
	v_and_b32_e32 v7, 0xffff, v7
	v_cndmask_b32_e32 v8, v14, v3, vcc_lo
	v_add_co_u32 v3, vcc_lo, v11, s16
	v_add_co_ci_u32_e32 v4, vcc_lo, s17, v12, vcc_lo
	v_and_or_b32 v8, 0x8000, v9, v8
	v_add_co_u32 v5, vcc_lo, v3, s16
	v_add_co_ci_u32_e32 v6, vcc_lo, s17, v4, vcc_lo
	v_lshl_or_b32 v9, v8, 16, v7
	v_add_co_u32 v7, vcc_lo, v5, s16
	v_add_co_ci_u32_e32 v8, vcc_lo, s17, v6, vcc_lo
	global_store_dword v[0:1], v2, off
	global_store_dword v[11:12], v16, off
	;; [unrolled: 1-line block ×5, first 2 shown]
.LBB0_2:
	s_endpgm
	.section	.rodata,"a",@progbits
	.p2align	6, 0x0
	.amdhsa_kernel bluestein_single_back_len320_dim1_half_op_CI_CI
		.amdhsa_group_segment_fixed_size 5120
		.amdhsa_private_segment_fixed_size 0
		.amdhsa_kernarg_size 104
		.amdhsa_user_sgpr_count 6
		.amdhsa_user_sgpr_private_segment_buffer 1
		.amdhsa_user_sgpr_dispatch_ptr 0
		.amdhsa_user_sgpr_queue_ptr 0
		.amdhsa_user_sgpr_kernarg_segment_ptr 1
		.amdhsa_user_sgpr_dispatch_id 0
		.amdhsa_user_sgpr_flat_scratch_init 0
		.amdhsa_user_sgpr_private_segment_size 0
		.amdhsa_wavefront_size32 1
		.amdhsa_uses_dynamic_stack 0
		.amdhsa_system_sgpr_private_segment_wavefront_offset 0
		.amdhsa_system_sgpr_workgroup_id_x 1
		.amdhsa_system_sgpr_workgroup_id_y 0
		.amdhsa_system_sgpr_workgroup_id_z 0
		.amdhsa_system_sgpr_workgroup_info 0
		.amdhsa_system_vgpr_workitem_id 0
		.amdhsa_next_free_vgpr 150
		.amdhsa_next_free_sgpr 20
		.amdhsa_reserve_vcc 1
		.amdhsa_reserve_flat_scratch 0
		.amdhsa_float_round_mode_32 0
		.amdhsa_float_round_mode_16_64 0
		.amdhsa_float_denorm_mode_32 3
		.amdhsa_float_denorm_mode_16_64 3
		.amdhsa_dx10_clamp 1
		.amdhsa_ieee_mode 1
		.amdhsa_fp16_overflow 0
		.amdhsa_workgroup_processor_mode 1
		.amdhsa_memory_ordered 1
		.amdhsa_forward_progress 0
		.amdhsa_shared_vgpr_count 0
		.amdhsa_exception_fp_ieee_invalid_op 0
		.amdhsa_exception_fp_denorm_src 0
		.amdhsa_exception_fp_ieee_div_zero 0
		.amdhsa_exception_fp_ieee_overflow 0
		.amdhsa_exception_fp_ieee_underflow 0
		.amdhsa_exception_fp_ieee_inexact 0
		.amdhsa_exception_int_div_zero 0
	.end_amdhsa_kernel
	.text
.Lfunc_end0:
	.size	bluestein_single_back_len320_dim1_half_op_CI_CI, .Lfunc_end0-bluestein_single_back_len320_dim1_half_op_CI_CI
                                        ; -- End function
	.section	.AMDGPU.csdata,"",@progbits
; Kernel info:
; codeLenInByte = 26620
; NumSgprs: 22
; NumVgprs: 150
; ScratchSize: 0
; MemoryBound: 0
; FloatMode: 240
; IeeeMode: 1
; LDSByteSize: 5120 bytes/workgroup (compile time only)
; SGPRBlocks: 2
; VGPRBlocks: 18
; NumSGPRsForWavesPerEU: 22
; NumVGPRsForWavesPerEU: 150
; Occupancy: 6
; WaveLimiterHint : 1
; COMPUTE_PGM_RSRC2:SCRATCH_EN: 0
; COMPUTE_PGM_RSRC2:USER_SGPR: 6
; COMPUTE_PGM_RSRC2:TRAP_HANDLER: 0
; COMPUTE_PGM_RSRC2:TGID_X_EN: 1
; COMPUTE_PGM_RSRC2:TGID_Y_EN: 0
; COMPUTE_PGM_RSRC2:TGID_Z_EN: 0
; COMPUTE_PGM_RSRC2:TIDIG_COMP_CNT: 0
	.text
	.p2alignl 6, 3214868480
	.fill 48, 4, 3214868480
	.type	__hip_cuid_e744c2f22d8e7053,@object ; @__hip_cuid_e744c2f22d8e7053
	.section	.bss,"aw",@nobits
	.globl	__hip_cuid_e744c2f22d8e7053
__hip_cuid_e744c2f22d8e7053:
	.byte	0                               ; 0x0
	.size	__hip_cuid_e744c2f22d8e7053, 1

	.ident	"AMD clang version 19.0.0git (https://github.com/RadeonOpenCompute/llvm-project roc-6.4.0 25133 c7fe45cf4b819c5991fe208aaa96edf142730f1d)"
	.section	".note.GNU-stack","",@progbits
	.addrsig
	.addrsig_sym __hip_cuid_e744c2f22d8e7053
	.amdgpu_metadata
---
amdhsa.kernels:
  - .args:
      - .actual_access:  read_only
        .address_space:  global
        .offset:         0
        .size:           8
        .value_kind:     global_buffer
      - .actual_access:  read_only
        .address_space:  global
        .offset:         8
        .size:           8
        .value_kind:     global_buffer
      - .actual_access:  read_only
        .address_space:  global
        .offset:         16
        .size:           8
        .value_kind:     global_buffer
      - .actual_access:  read_only
        .address_space:  global
        .offset:         24
        .size:           8
        .value_kind:     global_buffer
      - .actual_access:  read_only
        .address_space:  global
        .offset:         32
        .size:           8
        .value_kind:     global_buffer
      - .offset:         40
        .size:           8
        .value_kind:     by_value
      - .address_space:  global
        .offset:         48
        .size:           8
        .value_kind:     global_buffer
      - .address_space:  global
        .offset:         56
        .size:           8
        .value_kind:     global_buffer
      - .address_space:  global
        .offset:         64
        .size:           8
        .value_kind:     global_buffer
      - .address_space:  global
        .offset:         72
        .size:           8
        .value_kind:     global_buffer
      - .offset:         80
        .size:           4
        .value_kind:     by_value
      - .address_space:  global
        .offset:         88
        .size:           8
        .value_kind:     global_buffer
      - .address_space:  global
        .offset:         96
        .size:           8
        .value_kind:     global_buffer
    .group_segment_fixed_size: 5120
    .kernarg_segment_align: 8
    .kernarg_segment_size: 104
    .language:       OpenCL C
    .language_version:
      - 2
      - 0
    .max_flat_workgroup_size: 64
    .name:           bluestein_single_back_len320_dim1_half_op_CI_CI
    .private_segment_fixed_size: 0
    .sgpr_count:     22
    .sgpr_spill_count: 0
    .symbol:         bluestein_single_back_len320_dim1_half_op_CI_CI.kd
    .uniform_work_group_size: 1
    .uses_dynamic_stack: false
    .vgpr_count:     150
    .vgpr_spill_count: 0
    .wavefront_size: 32
    .workgroup_processor_mode: 1
amdhsa.target:   amdgcn-amd-amdhsa--gfx1030
amdhsa.version:
  - 1
  - 2
...

	.end_amdgpu_metadata
